;; amdgpu-corpus repo=ROCm/rocFFT kind=compiled arch=gfx950 opt=O3
	.text
	.amdgcn_target "amdgcn-amd-amdhsa--gfx950"
	.amdhsa_code_object_version 6
	.protected	fft_rtc_back_len1547_factors_17_7_13_wgs_119_tpt_119_halfLds_sp_op_CI_CI_sbrr_dirReg ; -- Begin function fft_rtc_back_len1547_factors_17_7_13_wgs_119_tpt_119_halfLds_sp_op_CI_CI_sbrr_dirReg
	.globl	fft_rtc_back_len1547_factors_17_7_13_wgs_119_tpt_119_halfLds_sp_op_CI_CI_sbrr_dirReg
	.p2align	8
	.type	fft_rtc_back_len1547_factors_17_7_13_wgs_119_tpt_119_halfLds_sp_op_CI_CI_sbrr_dirReg,@function
fft_rtc_back_len1547_factors_17_7_13_wgs_119_tpt_119_halfLds_sp_op_CI_CI_sbrr_dirReg: ; @fft_rtc_back_len1547_factors_17_7_13_wgs_119_tpt_119_halfLds_sp_op_CI_CI_sbrr_dirReg
; %bb.0:
	s_load_dwordx4 s[12:15], s[0:1], 0x18
	s_load_dwordx4 s[8:11], s[0:1], 0x0
	;; [unrolled: 1-line block ×3, first 2 shown]
	v_mul_u32_u24_e32 v1, 0x227, v0
	v_add_u32_sdwa v8, s2, v1 dst_sel:DWORD dst_unused:UNUSED_PAD src0_sel:DWORD src1_sel:WORD_1
	s_waitcnt lgkmcnt(0)
	s_load_dwordx2 s[18:19], s[12:13], 0x0
	s_load_dwordx2 s[16:17], s[14:15], 0x0
	v_mov_b32_e32 v6, 0
	v_cmp_lt_u64_e64 s[2:3], s[10:11], 2
	v_mov_b32_e32 v9, v6
	s_and_b64 vcc, exec, s[2:3]
	v_mov_b64_e32 v[26:27], 0
	s_cbranch_vccnz .LBB0_8
; %bb.1:
	s_load_dwordx2 s[2:3], s[0:1], 0x10
	s_add_u32 s20, s14, 8
	s_addc_u32 s21, s15, 0
	s_add_u32 s22, s12, 8
	s_addc_u32 s23, s13, 0
	s_waitcnt lgkmcnt(0)
	s_add_u32 s24, s2, 8
	v_mov_b64_e32 v[26:27], 0
	s_addc_u32 s25, s3, 0
	s_mov_b64 s[26:27], 1
	v_mov_b64_e32 v[2:3], v[26:27]
.LBB0_2:                                ; =>This Inner Loop Header: Depth=1
	s_load_dwordx2 s[28:29], s[24:25], 0x0
                                        ; implicit-def: $vgpr4_vgpr5
	s_waitcnt lgkmcnt(0)
	v_or_b32_e32 v7, s29, v9
	v_cmp_ne_u64_e32 vcc, 0, v[6:7]
	s_and_saveexec_b64 s[2:3], vcc
	s_xor_b64 s[30:31], exec, s[2:3]
	s_cbranch_execz .LBB0_4
; %bb.3:                                ;   in Loop: Header=BB0_2 Depth=1
	v_cvt_f32_u32_e32 v1, s28
	v_cvt_f32_u32_e32 v4, s29
	s_sub_u32 s2, 0, s28
	s_subb_u32 s3, 0, s29
	v_fmac_f32_e32 v1, 0x4f800000, v4
	v_rcp_f32_e32 v1, v1
	s_nop 0
	v_mul_f32_e32 v1, 0x5f7ffffc, v1
	v_mul_f32_e32 v4, 0x2f800000, v1
	v_trunc_f32_e32 v4, v4
	v_fmac_f32_e32 v1, 0xcf800000, v4
	v_cvt_u32_f32_e32 v7, v4
	v_cvt_u32_f32_e32 v1, v1
	v_mul_lo_u32 v4, s2, v7
	v_mul_hi_u32 v10, s2, v1
	v_mul_lo_u32 v5, s3, v1
	v_add_u32_e32 v10, v10, v4
	v_mul_lo_u32 v12, s2, v1
	v_add_u32_e32 v13, v10, v5
	v_mul_hi_u32 v4, v1, v12
	v_mul_hi_u32 v11, v1, v13
	v_mul_lo_u32 v10, v1, v13
	v_mov_b32_e32 v5, v6
	v_lshl_add_u64 v[4:5], v[4:5], 0, v[10:11]
	v_mul_hi_u32 v11, v7, v12
	v_mul_lo_u32 v12, v7, v12
	v_add_co_u32_e32 v4, vcc, v4, v12
	v_mul_hi_u32 v10, v7, v13
	s_nop 0
	v_addc_co_u32_e32 v4, vcc, v5, v11, vcc
	v_mov_b32_e32 v5, v6
	s_nop 0
	v_addc_co_u32_e32 v11, vcc, 0, v10, vcc
	v_mul_lo_u32 v10, v7, v13
	v_lshl_add_u64 v[4:5], v[4:5], 0, v[10:11]
	v_add_co_u32_e32 v1, vcc, v1, v4
	v_mul_lo_u32 v10, s2, v1
	s_nop 0
	v_addc_co_u32_e32 v7, vcc, v7, v5, vcc
	v_mul_lo_u32 v4, s2, v7
	v_mul_hi_u32 v5, s2, v1
	v_add_u32_e32 v4, v5, v4
	v_mul_lo_u32 v5, s3, v1
	v_add_u32_e32 v12, v4, v5
	v_mul_hi_u32 v14, v7, v10
	v_mul_lo_u32 v15, v7, v10
	v_mul_hi_u32 v5, v1, v12
	v_mul_lo_u32 v4, v1, v12
	v_mul_hi_u32 v10, v1, v10
	v_mov_b32_e32 v11, v6
	v_lshl_add_u64 v[4:5], v[10:11], 0, v[4:5]
	v_add_co_u32_e32 v4, vcc, v4, v15
	v_mul_hi_u32 v13, v7, v12
	s_nop 0
	v_addc_co_u32_e32 v4, vcc, v5, v14, vcc
	v_mul_lo_u32 v10, v7, v12
	s_nop 0
	v_addc_co_u32_e32 v11, vcc, 0, v13, vcc
	v_mov_b32_e32 v5, v6
	v_lshl_add_u64 v[4:5], v[4:5], 0, v[10:11]
	v_add_co_u32_e32 v1, vcc, v1, v4
	v_mul_hi_u32 v10, v8, v1
	s_nop 0
	v_addc_co_u32_e32 v7, vcc, v7, v5, vcc
	v_mad_u64_u32 v[4:5], s[2:3], v8, v7, 0
	v_mov_b32_e32 v11, v6
	v_lshl_add_u64 v[4:5], v[10:11], 0, v[4:5]
	v_mad_u64_u32 v[12:13], s[2:3], v9, v1, 0
	v_add_co_u32_e32 v1, vcc, v4, v12
	v_mad_u64_u32 v[10:11], s[2:3], v9, v7, 0
	s_nop 0
	v_addc_co_u32_e32 v4, vcc, v5, v13, vcc
	v_mov_b32_e32 v5, v6
	s_nop 0
	v_addc_co_u32_e32 v11, vcc, 0, v11, vcc
	v_lshl_add_u64 v[4:5], v[4:5], 0, v[10:11]
	v_mul_lo_u32 v1, s29, v4
	v_mul_lo_u32 v7, s28, v5
	v_mad_u64_u32 v[10:11], s[2:3], s28, v4, 0
	v_add3_u32 v1, v11, v7, v1
	v_sub_u32_e32 v7, v9, v1
	v_mov_b32_e32 v11, s29
	v_sub_co_u32_e32 v14, vcc, v8, v10
	v_lshl_add_u64 v[12:13], v[4:5], 0, 1
	s_nop 0
	v_subb_co_u32_e64 v7, s[2:3], v7, v11, vcc
	v_subrev_co_u32_e64 v10, s[2:3], s28, v14
	v_subb_co_u32_e32 v1, vcc, v9, v1, vcc
	s_nop 0
	v_subbrev_co_u32_e64 v7, s[2:3], 0, v7, s[2:3]
	v_cmp_le_u32_e64 s[2:3], s29, v7
	v_cmp_le_u32_e32 vcc, s29, v1
	s_nop 0
	v_cndmask_b32_e64 v11, 0, -1, s[2:3]
	v_cmp_le_u32_e64 s[2:3], s28, v10
	s_nop 1
	v_cndmask_b32_e64 v10, 0, -1, s[2:3]
	v_cmp_eq_u32_e64 s[2:3], s29, v7
	s_nop 1
	v_cndmask_b32_e64 v7, v11, v10, s[2:3]
	v_lshl_add_u64 v[10:11], v[4:5], 0, 2
	v_cmp_ne_u32_e64 s[2:3], 0, v7
	s_nop 1
	v_cndmask_b32_e64 v7, v13, v11, s[2:3]
	v_cndmask_b32_e64 v11, 0, -1, vcc
	v_cmp_le_u32_e32 vcc, s28, v14
	s_nop 1
	v_cndmask_b32_e64 v13, 0, -1, vcc
	v_cmp_eq_u32_e32 vcc, s29, v1
	s_nop 1
	v_cndmask_b32_e32 v1, v11, v13, vcc
	v_cmp_ne_u32_e32 vcc, 0, v1
	v_cndmask_b32_e64 v1, v12, v10, s[2:3]
	s_nop 0
	v_cndmask_b32_e32 v5, v5, v7, vcc
	v_cndmask_b32_e32 v4, v4, v1, vcc
.LBB0_4:                                ;   in Loop: Header=BB0_2 Depth=1
	s_andn2_saveexec_b64 s[2:3], s[30:31]
	s_cbranch_execz .LBB0_6
; %bb.5:                                ;   in Loop: Header=BB0_2 Depth=1
	v_cvt_f32_u32_e32 v1, s28
	s_sub_i32 s30, 0, s28
	v_rcp_iflag_f32_e32 v1, v1
	s_nop 0
	v_mul_f32_e32 v1, 0x4f7ffffe, v1
	v_cvt_u32_f32_e32 v1, v1
	v_mul_lo_u32 v4, s30, v1
	v_mul_hi_u32 v4, v1, v4
	v_add_u32_e32 v1, v1, v4
	v_mul_hi_u32 v1, v8, v1
	v_mul_lo_u32 v4, v1, s28
	v_sub_u32_e32 v4, v8, v4
	v_add_u32_e32 v5, 1, v1
	v_subrev_u32_e32 v7, s28, v4
	v_cmp_le_u32_e32 vcc, s28, v4
	s_nop 1
	v_cndmask_b32_e32 v4, v4, v7, vcc
	v_cndmask_b32_e32 v1, v1, v5, vcc
	v_add_u32_e32 v5, 1, v1
	v_cmp_le_u32_e32 vcc, s28, v4
	s_nop 1
	v_cndmask_b32_e32 v4, v1, v5, vcc
	v_mov_b32_e32 v5, v6
.LBB0_6:                                ;   in Loop: Header=BB0_2 Depth=1
	s_or_b64 exec, exec, s[2:3]
	v_mad_u64_u32 v[10:11], s[2:3], v4, s28, 0
	s_load_dwordx2 s[2:3], s[22:23], 0x0
	v_mul_lo_u32 v1, v5, s28
	v_mul_lo_u32 v7, v4, s29
	s_load_dwordx2 s[28:29], s[20:21], 0x0
	s_add_u32 s26, s26, 1
	v_add3_u32 v1, v11, v7, v1
	v_sub_co_u32_e32 v7, vcc, v8, v10
	s_addc_u32 s27, s27, 0
	s_nop 0
	v_subb_co_u32_e32 v1, vcc, v9, v1, vcc
	s_add_u32 s20, s20, 8
	s_waitcnt lgkmcnt(0)
	v_mul_lo_u32 v8, s2, v1
	v_mul_lo_u32 v9, s3, v7
	v_mad_u64_u32 v[26:27], s[2:3], s2, v7, v[26:27]
	s_addc_u32 s21, s21, 0
	v_add3_u32 v27, v9, v27, v8
	v_mul_lo_u32 v1, s28, v1
	v_mul_lo_u32 v8, s29, v7
	v_mad_u64_u32 v[2:3], s[2:3], s28, v7, v[2:3]
	s_add_u32 s22, s22, 8
	v_add3_u32 v3, v8, v3, v1
	s_addc_u32 s23, s23, 0
	v_mov_b64_e32 v[8:9], s[10:11]
	s_add_u32 s24, s24, 8
	v_cmp_ge_u64_e32 vcc, s[26:27], v[8:9]
	s_addc_u32 s25, s25, 0
	s_cbranch_vccnz .LBB0_9
; %bb.7:                                ;   in Loop: Header=BB0_2 Depth=1
	v_mov_b64_e32 v[8:9], v[4:5]
	s_branch .LBB0_2
.LBB0_8:
	v_mov_b64_e32 v[2:3], v[26:27]
	v_mov_b64_e32 v[4:5], v[8:9]
.LBB0_9:
	s_load_dwordx2 s[0:1], s[0:1], 0x28
	s_lshl_b64 s[20:21], s[10:11], 3
	s_add_u32 s2, s14, s20
	s_addc_u32 s3, s15, s21
	s_load_dwordx2 s[10:11], s[2:3], 0x0
	s_waitcnt lgkmcnt(0)
	v_cmp_gt_u64_e32 vcc, s[0:1], v[4:5]
	s_mov_b32 s0, 0x226b903
	v_mul_hi_u32 v1, v0, s0
	v_mul_u32_u24_e32 v1, 0x77, v1
	v_mov_b32_e32 v25, 0
	v_sub_u32_e32 v118, v0, v1
	v_mov_b32_e32 v119, 0
	v_mov_b32_e32 v42, v25
                                        ; implicit-def: $vgpr52
                                        ; implicit-def: $vgpr16
                                        ; implicit-def: $vgpr22
                                        ; implicit-def: $vgpr14
                                        ; implicit-def: $vgpr40
                                        ; implicit-def: $vgpr10
                                        ; implicit-def: $vgpr46
                                        ; implicit-def: $vgpr20
                                        ; implicit-def: $vgpr44
                                        ; implicit-def: $vgpr18
                                        ; implicit-def: $vgpr50
                                        ; implicit-def: $vgpr12
                                        ; implicit-def: $vgpr48
                                        ; implicit-def: $vgpr8
                                        ; implicit-def: $vgpr38
                                        ; implicit-def: $vgpr6
	s_and_saveexec_b64 s[2:3], vcc
	s_cbranch_execz .LBB0_13
; %bb.10:
	s_movk_i32 s0, 0x5b
	v_cmp_gt_u32_e64 s[0:1], s0, v118
	v_mov_b32_e32 v42, 0
	v_mov_b32_e32 v25, 0
                                        ; implicit-def: $vgpr7
                                        ; implicit-def: $vgpr39
                                        ; implicit-def: $vgpr9
                                        ; implicit-def: $vgpr49
                                        ; implicit-def: $vgpr13
                                        ; implicit-def: $vgpr51
                                        ; implicit-def: $vgpr19
                                        ; implicit-def: $vgpr45
                                        ; implicit-def: $vgpr21
                                        ; implicit-def: $vgpr47
                                        ; implicit-def: $vgpr11
                                        ; implicit-def: $vgpr41
                                        ; implicit-def: $vgpr15
                                        ; implicit-def: $vgpr23
                                        ; implicit-def: $vgpr17
                                        ; implicit-def: $vgpr52
	s_and_saveexec_b64 s[14:15], s[0:1]
	s_cbranch_execz .LBB0_12
; %bb.11:
	s_add_u32 s0, s12, s20
	s_addc_u32 s1, s13, s21
	s_load_dwordx2 s[0:1], s[0:1], 0x0
	v_add_u32_e32 v11, 0x5b, v118
	v_add_u32_e32 v13, 0x1c7, v118
	;; [unrolled: 1-line block ×3, first 2 shown]
	s_waitcnt lgkmcnt(0)
	v_mul_lo_u32 v6, s1, v4
	v_mul_lo_u32 v7, s0, v5
	v_mad_u64_u32 v[0:1], s[0:1], s0, v4, 0
	v_add3_u32 v1, v1, v7, v6
	v_mad_u64_u32 v[6:7], s[0:1], s18, v118, 0
	v_mov_b32_e32 v8, v7
	v_mad_u64_u32 v[8:9], s[0:1], s19, v118, v[8:9]
	v_mov_b32_e32 v7, v8
	;; [unrolled: 2-line block ×3, first 2 shown]
	v_lshl_add_u64 v[0:1], v[0:1], 3, s[4:5]
	v_mad_u64_u32 v[10:11], s[0:1], s19, v11, v[10:11]
	v_lshl_add_u64 v[0:1], v[26:27], 3, v[0:1]
	v_mov_b32_e32 v9, v10
	v_lshl_add_u64 v[6:7], v[6:7], 3, v[0:1]
	v_lshl_add_u64 v[8:9], v[8:9], 3, v[0:1]
	global_load_dwordx2 v[42:43], v[6:7], off
	global_load_dwordx2 v[38:39], v[8:9], off
	v_add_u32_e32 v9, 0xb6, v118
	v_mad_u64_u32 v[6:7], s[0:1], s18, v9, 0
	v_mov_b32_e32 v8, v7
	v_mad_u64_u32 v[8:9], s[0:1], s19, v9, v[8:9]
	v_add_u32_e32 v11, 0x111, v118
	v_mov_b32_e32 v7, v8
	v_mad_u64_u32 v[8:9], s[0:1], s18, v11, 0
	v_mov_b32_e32 v10, v9
	v_mad_u64_u32 v[10:11], s[0:1], s19, v11, v[10:11]
	v_mov_b32_e32 v9, v10
	v_add_u32_e32 v11, 0x16c, v118
	v_lshl_add_u64 v[24:25], v[8:9], 3, v[0:1]
	v_mad_u64_u32 v[8:9], s[0:1], s18, v11, 0
	v_mov_b32_e32 v10, v9
	v_mad_u64_u32 v[10:11], s[0:1], s19, v11, v[10:11]
	v_mov_b32_e32 v9, v10
	;; [unrolled: 2-line block ×4, first 2 shown]
	v_lshl_add_u64 v[12:13], v[10:11], 3, v[0:1]
	v_mad_u64_u32 v[10:11], s[0:1], s18, v15, 0
	v_mov_b32_e32 v14, v11
	v_mad_u64_u32 v[14:15], s[0:1], s19, v15, v[14:15]
	v_mov_b32_e32 v11, v14
	v_add_u32_e32 v15, 0x27d, v118
	v_lshl_add_u64 v[18:19], v[10:11], 3, v[0:1]
	v_mad_u64_u32 v[10:11], s[0:1], s18, v15, 0
	v_mov_b32_e32 v14, v11
	v_mad_u64_u32 v[14:15], s[0:1], s19, v15, v[14:15]
	v_mov_b32_e32 v11, v14
	v_add_u32_e32 v15, 0x2d8, v118
	;; [unrolled: 6-line block ×5, first 2 shown]
	v_lshl_add_u64 v[28:29], v[10:11], 3, v[0:1]
	v_mad_u64_u32 v[10:11], s[0:1], s18, v15, 0
	v_mov_b32_e32 v14, v11
	v_mad_u64_u32 v[14:15], s[0:1], s19, v15, v[14:15]
	v_mov_b32_e32 v11, v14
	v_lshl_add_u64 v[30:31], v[10:11], 3, v[0:1]
	global_load_dwordx2 v[16:17], v[22:23], off
	global_load_dwordx2 v[52:53], v[26:27], off
	;; [unrolled: 1-line block ×4, first 2 shown]
	v_add_u32_e32 v27, 0x444, v118
	v_mad_u64_u32 v[22:23], s[0:1], s18, v27, 0
	v_mov_b32_e32 v26, v23
	v_mad_u64_u32 v[26:27], s[0:1], s19, v27, v[26:27]
	v_mov_b32_e32 v23, v26
	v_add_u32_e32 v29, 0x49f, v118
	v_lshl_add_u64 v[26:27], v[22:23], 3, v[0:1]
	v_mad_u64_u32 v[22:23], s[0:1], s18, v29, 0
	v_mov_b32_e32 v28, v23
	v_mad_u64_u32 v[28:29], s[0:1], s19, v29, v[28:29]
	v_mov_b32_e32 v23, v28
	v_lshl_add_u64 v[8:9], v[8:9], 3, v[0:1]
	v_lshl_add_u64 v[28:29], v[22:23], 3, v[0:1]
	global_load_dwordx2 v[22:23], v[20:21], off
	global_load_dwordx2 v[40:41], v[18:19], off
	;; [unrolled: 1-line block ×4, first 2 shown]
	v_add_u32_e32 v13, 0x4fa, v118
	v_mad_u64_u32 v[8:9], s[0:1], s18, v13, 0
	v_mov_b32_e32 v12, v9
	v_mad_u64_u32 v[12:13], s[0:1], s19, v13, v[12:13]
	v_mov_b32_e32 v9, v12
	v_add_u32_e32 v13, 0x555, v118
	v_lshl_add_u64 v[30:31], v[8:9], 3, v[0:1]
	v_mad_u64_u32 v[8:9], s[0:1], s18, v13, 0
	v_mov_b32_e32 v12, v9
	v_mad_u64_u32 v[12:13], s[0:1], s19, v13, v[12:13]
	v_mov_b32_e32 v9, v12
	v_lshl_add_u64 v[6:7], v[6:7], 3, v[0:1]
	v_lshl_add_u64 v[32:33], v[8:9], 3, v[0:1]
	global_load_dwordx2 v[50:51], v[24:25], off
	global_load_dwordx2 v[48:49], v[6:7], off
	;; [unrolled: 1-line block ×6, first 2 shown]
	v_add_u32_e32 v25, 0x5b0, v118
	v_mad_u64_u32 v[6:7], s[0:1], s18, v25, 0
	v_mov_b32_e32 v24, v7
	v_mad_u64_u32 v[24:25], s[0:1], s19, v25, v[24:25]
	v_mov_b32_e32 v7, v24
	v_lshl_add_u64 v[0:1], v[6:7], 3, v[0:1]
	global_load_dwordx2 v[6:7], v[0:1], off
	s_waitcnt vmcnt(16)
	v_mov_b32_e32 v25, v43
	s_waitcnt vmcnt(13)
	v_mov_b32_e32 v24, v53
.LBB0_12:
	s_or_b64 exec, exec, s[14:15]
	v_mov_b32_e32 v119, v118
.LBB0_13:
	s_or_b64 exec, exec, s[2:3]
	s_waitcnt vmcnt(0)
	v_pk_add_f32 v[30:31], v[38:39], v[6:7] neg_lo:[0,1] neg_hi:[0,1]
	v_pk_add_f32 v[58:59], v[38:39], v[6:7]
	v_mov_b32_e32 v1, v31
	v_mov_b32_e32 v0, v58
	s_mov_b32 s3, 0xbf4c4adb
	s_mov_b32 s2, 0xbf1a4643
	v_pk_mul_f32 v[34:35], v[0:1], s[2:3]
	v_pk_add_f32 v[56:57], v[48:49], v[8:9] neg_lo:[0,1] neg_hi:[0,1]
	v_pk_add_f32 v[54:55], v[50:51], v[12:13] neg_lo:[0,1] neg_hi:[0,1]
	s_mov_b32 s36, 0x3f763a35
	v_mov_b32_e32 v98, v35
	v_pk_add_f32 v[86:87], v[48:49], v[8:9]
	v_pk_add_f32 v[84:85], v[50:51], v[12:13]
	s_mov_b32 s26, 0xbe8c1d8e
	v_mov_b32_e32 v26, v57
	v_mov_b32_e32 v27, v55
	s_mov_b32 s37, 0xbeb8f4ab
	v_pk_fma_f32 v[0:1], v[0:1], s[2:3], v[98:99] neg_lo:[0,0,1] neg_hi:[0,0,1]
	v_mov_b32_e32 v104, v86
	v_mov_b32_e32 v105, v84
	s_mov_b32 s27, 0x3f6eb680
	v_pk_mul_f32 v[96:97], v[26:27], s[36:37]
	v_pk_add_f32 v[0:1], v[42:43], v[0:1] op_sel_hi:[0,1]
	v_pk_fma_f32 v[26:27], v[104:105], s[26:27], v[96:97] neg_lo:[0,0,1] neg_hi:[0,0,1]
	v_pk_add_f32 v[92:93], v[44:45], v[18:19] neg_lo:[0,1] neg_hi:[0,1]
	v_pk_add_f32 v[0:1], v[0:1], v[26:27]
	v_mov_b32_e32 v26, v27
	v_pk_add_f32 v[64:65], v[46:47], v[20:21] neg_lo:[0,1] neg_hi:[0,1]
	s_mov_b32 s24, 0xbf06c442
	v_pk_add_f32 v[0:1], v[0:1], v[26:27]
	v_pk_add_f32 v[94:95], v[44:45], v[18:19]
	;; [unrolled: 1-line block ×3, first 2 shown]
	s_mov_b32 s30, 0xbf59a7d5
	v_mov_b32_e32 v26, v93
	v_mov_b32_e32 v27, v65
	s_mov_b32 s25, 0x3f7ee86f
	v_mov_b32_e32 v106, v94
	v_mov_b32_e32 v107, v82
	s_mov_b32 s31, 0x3dbcf732
	v_pk_mul_f32 v[100:101], v[26:27], s[24:25]
	v_pk_add_f32 v[72:73], v[40:41], v[10:11] neg_lo:[0,1] neg_hi:[0,1]
	v_pk_fma_f32 v[26:27], v[106:107], s[30:31], v[100:101] neg_lo:[0,0,1] neg_hi:[0,0,1]
	v_pk_add_f32 v[70:71], v[22:23], v[14:15] neg_lo:[0,1] neg_hi:[0,1]
	v_pk_add_f32 v[0:1], v[0:1], v[26:27]
	v_mov_b32_e32 v26, v27
	v_pk_add_f32 v[0:1], v[0:1], v[26:27]
	v_pk_add_f32 v[90:91], v[40:41], v[10:11]
	;; [unrolled: 1-line block ×3, first 2 shown]
	s_mov_b32 s34, 0x3f3d2fb0
	v_mov_b32_e32 v26, v73
	v_mov_b32_e32 v27, v71
	s_mov_b32 s41, 0xbe3c28d5
	s_mov_b32 s40, 0xbf2c7751
	v_mov_b32_e32 v108, v90
	v_mov_b32_e32 v109, v88
	s_mov_b32 s35, 0xbf7ba420
	v_pk_mul_f32 v[102:103], v[26:27], s[40:41]
	s_mov_b32 s39, 0xbf7ee86f
	v_pk_fma_f32 v[26:27], v[108:109], s[34:35], v[102:103] neg_lo:[0,0,1] neg_hi:[0,0,1]
	s_mov_b32 s38, 0xbf763a35
	v_pk_add_f32 v[0:1], v[26:27], v[0:1]
	s_mov_b32 s28, s26
	v_mov_b32_e32 v1, v0
	s_mov_b32 s29, s31
	v_pk_mul_f32 v[60:61], v[30:31], s[38:39] op_sel:[1,0]
	s_mov_b32 s40, 0x3f06c442
	v_pk_add_f32 v[26:27], v[0:1], v[26:27]
	v_pk_fma_f32 v[0:1], v[58:59], s[28:29], v[60:61] op_sel_hi:[0,1,1] neg_lo:[0,0,1] neg_hi:[0,0,1]
	s_mov_b32 s18, s30
	s_mov_b32 s19, s35
	v_pk_mul_f32 v[62:63], v[56:57], s[40:41] op_sel:[1,0]
	s_mov_b32 s42, 0x3f2c7751
	s_mov_b32 s43, s36
	v_pk_add_f32 v[0:1], v[42:43], v[0:1] op_sel_hi:[0,1]
	v_pk_fma_f32 v[28:29], v[86:87], s[18:19], v[62:63] op_sel_hi:[0,1,1] neg_lo:[0,0,1] neg_hi:[0,0,1]
	s_mov_b32 s20, s34
	s_mov_b32 s21, s26
	v_pk_mul_f32 v[66:67], v[54:55], s[42:43] op_sel:[1,0]
	s_mov_b32 s45, 0x3eb8f4ab
	s_mov_b32 s44, 0xbf65296c
	v_pk_add_f32 v[0:1], v[0:1], v[28:29]
	v_pk_fma_f32 v[28:29], v[84:85], s[20:21], v[66:67] op_sel_hi:[0,1,1] neg_lo:[0,0,1] neg_hi:[0,0,1]
	s_mov_b32 s22, 0x3ee437d1
	s_mov_b32 s23, s27
	v_pk_mul_f32 v[68:69], v[92:93], s[44:45] op_sel:[1,0]
	s_mov_b32 s0, s41
	s_mov_b32 s1, s44
	v_pk_add_f32 v[0:1], v[0:1], v[28:29]
	v_pk_fma_f32 v[28:29], v[94:95], s[22:23], v[68:69] op_sel_hi:[0,1,1] neg_lo:[0,0,1] neg_hi:[0,0,1]
	s_mov_b32 s12, s35
	s_mov_b32 s13, s22
	v_pk_mul_f32 v[74:75], v[64:65], s[0:1] op_sel:[1,0]
	s_mov_b32 s4, s25
	s_mov_b32 s5, s24
	v_mov_b32_e32 v53, v24
	v_pk_add_f32 v[0:1], v[0:1], v[28:29]
	v_pk_fma_f32 v[28:29], v[82:83], s[12:13], v[74:75] op_sel_hi:[0,1,1] neg_lo:[0,0,1] neg_hi:[0,0,1]
	s_mov_b32 s0, s31
	s_mov_b32 s1, s30
	v_pk_mul_f32 v[76:77], v[72:73], s[4:5] op_sel:[1,0]
	s_mov_b32 s47, 0x3f4c4adb
	s_mov_b32 s46, s37
	v_pk_add_f32 v[32:33], v[16:17], v[52:53] neg_lo:[0,1] neg_hi:[0,1]
	v_pk_add_f32 v[0:1], v[0:1], v[28:29]
	v_pk_fma_f32 v[28:29], v[90:91], s[0:1], v[76:77] op_sel_hi:[0,1,1] neg_lo:[0,0,1] neg_hi:[0,0,1]
	s_mov_b32 s14, s27
	s_mov_b32 s15, s2
	v_pk_mul_f32 v[78:79], v[70:71], s[46:47] op_sel:[1,0]
	s_mov_b32 s48, s3
	s_mov_b32 s49, s42
	v_pk_add_f32 v[36:37], v[16:17], v[52:53]
	v_pk_add_f32 v[0:1], v[28:29], v[0:1]
	v_pk_fma_f32 v[28:29], v[88:89], s[14:15], v[78:79] op_sel_hi:[0,1,1] neg_lo:[0,0,1] neg_hi:[0,0,1]
	s_mov_b32 s4, s2
	s_mov_b32 s5, s34
	v_pk_mul_f32 v[80:81], v[32:33], s[48:49] op_sel:[1,0]
	v_pk_add_f32 v[0:1], v[0:1], v[28:29]
	v_pk_fma_f32 v[28:29], v[36:37], s[4:5], v[80:81] op_sel_hi:[0,1,1] neg_lo:[0,0,1] neg_hi:[0,0,1]
	v_pk_add_f32 v[0:1], v[28:29], v[0:1]
	v_pk_mul_f32 v[28:29], v[58:59], s[18:19] op_sel_hi:[0,1]
	s_mov_b32 s40, s24
	s_mov_b32 s44, 0x3f65296c
	v_pk_fma_f32 v[112:113], v[30:31], s[40:41], v[28:29] op_sel:[1,0,0]
	v_pk_mul_f32 v[114:115], v[86:87], s[22:23] op_sel_hi:[0,1]
	v_pk_mul_f32 v[110:111], v[30:31], s[40:41] op_sel:[1,0]
	v_pk_add_f32 v[112:113], v[42:43], v[112:113] op_sel_hi:[0,1]
	v_pk_mul_f32 v[116:117], v[56:57], s[44:45] op_sel:[1,0]
	v_pk_fma_f32 v[120:121], v[56:57], s[44:45], v[114:115] op_sel:[1,0,0]
	v_mov_b32_e32 v122, v111
	v_pk_add_f32 v[112:113], v[112:113], v[120:121]
	v_mov_b32_e32 v120, v29
	v_mov_b32_e32 v121, v115
	;; [unrolled: 1-line block ×3, first 2 shown]
	v_pk_add_f32 v[120:121], v[120:121], v[122:123] neg_lo:[0,1] neg_hi:[0,1]
	s_mov_b32 s48, s39
	v_pk_add_f32 v[122:123], v[42:43], v[120:121] op_sel_hi:[0,1]
	v_mov_b32_e32 v26, v121
	v_pk_add_f32 v[120:121], v[122:123], v[26:27]
	v_pk_mul_f32 v[122:123], v[84:85], s[0:1] op_sel_hi:[0,1]
	s_mov_b32 s49, s24
	v_pk_fma_f32 v[126:127], v[54:55], s[48:49], v[122:123] op_sel:[1,0,0]
	s_mov_b32 s46, s47
	v_pk_add_f32 v[112:113], v[112:113], v[126:127]
	v_pk_mul_f32 v[126:127], v[94:95], s[4:5] op_sel_hi:[0,1]
	s_mov_b32 s47, s42
	v_pk_mul_f32 v[124:125], v[54:55], s[48:49] op_sel:[1,0]
	v_sub_f32_e32 v35, v114, v116
	v_pk_mul_f32 v[114:115], v[92:93], s[46:47] op_sel:[1,0]
	v_pk_fma_f32 v[116:117], v[92:93], s[46:47], v[126:127] op_sel:[1,0,0]
	v_mov_b32_e32 v128, v125
	v_pk_add_f32 v[112:113], v[112:113], v[116:117]
	v_mov_b32_e32 v116, v123
	v_mov_b32_e32 v117, v127
	;; [unrolled: 1-line block ×3, first 2 shown]
	v_pk_add_f32 v[116:117], v[116:117], v[128:129] neg_lo:[0,1] neg_hi:[0,1]
	s_mov_b32 s2, s37
	v_pk_add_f32 v[120:121], v[120:121], v[116:117]
	v_mov_b32_e32 v26, v117
	v_pk_add_f32 v[116:117], v[120:121], v[26:27]
	v_pk_mul_f32 v[120:121], v[82:83], s[14:15] op_sel_hi:[0,1]
	v_pk_fma_f32 v[128:129], v[64:65], s[2:3], v[120:121] op_sel:[1,0,0]
	v_sub_f32_e32 v43, v28, v110
	v_pk_mul_f32 v[28:29], v[64:65], s[2:3] op_sel:[1,0]
	v_sub_f32_e32 v53, v122, v124
	v_pk_mul_f32 v[122:123], v[90:91], s[12:13] op_sel_hi:[0,1]
	s_mov_b32 s2, s41
	s_mov_b32 s3, s44
	v_pk_add_f32 v[112:113], v[112:113], v[128:129]
	v_pk_fma_f32 v[110:111], v[72:73], s[2:3], v[122:123] op_sel:[1,0,0]
	v_pk_mul_f32 v[124:125], v[72:73], s[2:3] op_sel:[1,0]
	v_pk_add_f32 v[112:113], v[110:111], v[112:113]
	v_mov_b32_e32 v110, v123
	v_mov_b32_e32 v111, v121
	;; [unrolled: 1-line block ×4, first 2 shown]
	v_pk_add_f32 v[110:111], v[110:111], v[128:129] neg_lo:[0,1] neg_hi:[0,1]
	v_add_f32_e32 v43, v42, v43
	v_mov_b32_e32 v26, v111
	v_pk_add_f32 v[116:117], v[116:117], v[26:27]
	v_sub_f32_e32 v26, v126, v114
	v_pk_mul_f32 v[114:115], v[88:89], s[20:21] op_sel_hi:[0,1]
	s_mov_b32 s43, s38
	v_add_f32_e32 v35, v43, v35
	v_pk_add_f32 v[116:117], v[110:111], v[116:117]
	v_sub_f32_e32 v54, v120, v28
	v_pk_fma_f32 v[28:29], v[70:71], s[42:43], v[114:115] op_sel:[1,0,0]
	v_pk_fma_f32 v[120:121], v[70:71], s[42:43], v[114:115] op_sel:[1,0,0] neg_lo:[1,0,0] neg_hi:[1,0,0]
	v_add_f32_e32 v35, v35, v53
	v_mul_f32_e32 v111, 0x3ee437d1, v36
	v_pk_add_f32 v[28:29], v[112:113], v[28:29]
	v_mul_f32_e32 v113, 0x3f65296c, v33
	v_mov_b32_e32 v110, v116
	v_mov_b32_e32 v112, v121
	s_mov_b32 s39, s25
	v_add_f32_e32 v26, v35, v26
	v_pk_add_f32 v[126:127], v[116:117], v[112:113]
	v_pk_add_f32 v[114:115], v[110:111], v[112:113] neg_lo:[0,1] neg_hi:[0,1]
	v_pk_mul_f32 v[116:117], v[32:33], s[38:39] op_sel:[1,0]
	v_add_f32_e32 v26, v26, v54
	v_sub_f32_e32 v35, v122, v124
	v_mov_b32_e32 v127, v115
	v_pk_fma_f32 v[114:115], v[36:37], s[28:29], v[116:117] op_sel_hi:[0,1,1]
	v_pk_fma_f32 v[116:117], v[36:37], s[28:29], v[116:117] op_sel_hi:[0,1,1] neg_lo:[0,0,1] neg_hi:[0,0,1]
	v_add_f32_e32 v26, v35, v26
	v_add_f32_e32 v43, v26, v120
	v_mov_b32_e32 v26, v117
	s_movk_i32 s2, 0x5a
	v_pk_add_f32 v[26:27], v[126:127], v[26:27]
	v_cmp_lt_u32_e64 s[2:3], s2, v118
	s_and_saveexec_b64 s[24:25], s[2:3]
	s_xor_b64 s[24:25], exec, s[24:25]
; %bb.14:
                                        ; implicit-def: $vgpr52
                                        ; implicit-def: $vgpr42
                                        ; implicit-def: $vgpr58_vgpr59
                                        ; implicit-def: $vgpr34_vgpr35
                                        ; implicit-def: $vgpr96_vgpr97
                                        ; implicit-def: $vgpr100_vgpr101
                                        ; implicit-def: $vgpr102_vgpr103
                                        ; implicit-def: $vgpr60_vgpr61
                                        ; implicit-def: $vgpr62_vgpr63
                                        ; implicit-def: $vgpr66_vgpr67
                                        ; implicit-def: $vgpr68_vgpr69
                                        ; implicit-def: $vgpr74_vgpr75
                                        ; implicit-def: $vgpr76_vgpr77
                                        ; implicit-def: $vgpr78_vgpr79
                                        ; implicit-def: $vgpr80_vgpr81
                                        ; implicit-def: $vgpr111
                                        ; implicit-def: $vgpr113
                                        ; implicit-def: $vgpr56_vgpr57
                                        ; implicit-def: $vgpr86_vgpr87
                                        ; implicit-def: $vgpr54_vgpr55
                                        ; implicit-def: $vgpr84_vgpr85
                                        ; implicit-def: $vgpr92_vgpr93
                                        ; implicit-def: $vgpr94_vgpr95
                                        ; implicit-def: $vgpr64_vgpr65
                                        ; implicit-def: $vgpr82_vgpr83
                                        ; implicit-def: $vgpr72_vgpr73
                                        ; implicit-def: $vgpr90_vgpr91
                                        ; implicit-def: $vgpr70_vgpr71
                                        ; implicit-def: $vgpr88_vgpr89
                                        ; implicit-def: $vgpr108_vgpr109
                                        ; implicit-def: $vgpr106_vgpr107
                                        ; implicit-def: $vgpr104_vgpr105
                                        ; implicit-def: $vgpr98_vgpr99
; %bb.15:
	s_or_saveexec_b64 s[24:25], s[24:25]
	v_add_f32_e32 v35, v116, v43
	v_pk_add_f32 v[28:29], v[114:115], v[28:29]
	s_xor_b64 exec, exec, s[24:25]
	s_cbranch_execz .LBB0_17
; %bb.16:
	v_pk_mul_f32 v[104:105], v[104:105], s[26:27]
	v_add_f32_e32 v34, v98, v34
	v_pk_add_f32 v[104:105], v[96:97], v[104:105]
	v_add_f32_e32 v34, v42, v34
	v_pk_mul_f32 v[106:107], v[106:107], s[30:31]
	v_add_f32_e32 v34, v34, v104
	v_pk_add_f32 v[100:101], v[100:101], v[106:107]
	v_add_f32_e32 v34, v34, v105
	;; [unrolled: 4-line block ×3, first 2 shown]
	s_mov_b32 s26, 0x3f3d2fb0
	s_mov_b32 s40, 0xbf2c7751
	v_mov_b32_e32 v114, v57
	v_mov_b32_e32 v115, v86
	v_add_f32_e32 v34, v102, v34
	s_mov_b32 s27, 0x3ee437d1
	s_mov_b32 s41, 0xbf65296c
	;; [unrolled: 1-line block ×4, first 2 shown]
	v_mov_b32_e32 v116, v55
	v_mov_b32_e32 v117, v84
	v_pk_mul_f32 v[106:107], v[58:59], s[28:29] op_sel_hi:[0,1]
	v_add_f32_e32 v34, v34, v103
	v_add_f32_e32 v54, v113, v111
	s_mov_b32 s28, 0x3dbcf732
	s_mov_b32 s38, 0xbf7ee86f
	;; [unrolled: 1-line block ×3, first 2 shown]
	v_mul_f32_e32 v64, 0xbeb8f4ab, v31
	v_pk_mul_f32 v[98:99], v[114:115], s[44:45]
	s_mov_b32 s46, s41
	s_mov_b32 s47, s27
	v_mov_b32_e32 v120, v93
	v_mov_b32_e32 v121, v94
	v_add_f32_e32 v34, v54, v34
	s_mov_b32 s29, 0xbf1a4643
	s_mov_b32 s39, 0xbf4c4adb
	;; [unrolled: 1-line block ×3, first 2 shown]
	v_fma_f32 v54, v58, s37, -v64
	v_pk_mul_f32 v[100:101], v[116:117], s[46:47]
	s_mov_b32 s48, s38
	s_mov_b32 s49, s28
	v_mov_b32_e32 v59, v98
	v_mov_b32_e32 v122, v65
	;; [unrolled: 1-line block ×3, first 2 shown]
	s_mov_b32 s42, 0x3eb8f4ab
	v_add_f32_e32 v54, v42, v54
	v_sub_f32_e32 v56, v99, v98
	v_pk_mul_f32 v[102:103], v[120:121], s[48:49]
	s_mov_b32 s50, 0xbf763a35
	s_mov_b32 s51, s31
	v_pk_fma_f32 v[98:99], v[114:115], s[44:45], v[58:59]
	v_mov_b32_e32 v59, v100
	v_mov_b32_e32 v124, v73
	;; [unrolled: 1-line block ×3, first 2 shown]
	s_mov_b32 s34, 0xbf59a7d5
	s_mov_b32 s43, 0xbf06c442
	v_add_f32_e32 v54, v54, v56
	v_sub_f32_e32 v56, v101, v100
	v_pk_mul_f32 v[104:105], v[122:123], s[50:51]
	s_mov_b32 s52, s39
	s_mov_b32 s53, s29
	v_pk_fma_f32 v[100:101], v[116:117], s[46:47], v[58:59]
	v_mov_b32_e32 v59, v102
	v_mov_b32_e32 v126, v71
	;; [unrolled: 1-line block ×3, first 2 shown]
	v_add_f32_e32 v54, v54, v56
	v_sub_f32_e32 v56, v103, v102
	v_pk_mul_f32 v[108:109], v[124:125], s[52:53]
	s_mov_b32 s54, s43
	s_mov_b32 s55, s34
	v_mov_b32_e32 v114, v86
	v_pk_mul_f32 v[86:87], v[86:87], s[18:19] op_sel_hi:[0,1]
	v_mov_b32_e32 v116, v84
	v_pk_mul_f32 v[84:85], v[84:85], s[20:21] op_sel_hi:[0,1]
	v_pk_fma_f32 v[102:103], v[120:121], s[48:49], v[58:59]
	v_mov_b32_e32 v92, v93
	v_mov_b32_e32 v59, v104
	s_mov_b32 s19, 0xbf7ba420
	s_mov_b32 s21, 0x3f763a35
	;; [unrolled: 1-line block ×3, first 2 shown]
	v_add_f32_e32 v54, v54, v56
	v_sub_f32_e32 v56, v105, v104
	v_pk_mul_f32 v[110:111], v[126:127], s[54:55]
	v_mov_b32_e32 v120, v94
	v_pk_mul_f32 v[94:95], v[94:95], s[22:23] op_sel_hi:[0,1]
	v_pk_fma_f32 v[104:105], v[122:123], s[50:51], v[58:59]
	v_mov_b32_e32 v122, v33
	v_mov_b32_e32 v123, v36
	v_pk_mul_f32 v[92:93], v[92:93], s[20:21]
	s_mov_b32 s22, s21
	s_mov_b32 s21, s19
	v_mov_b32_e32 v59, v108
	v_mov_b32_e32 v43, v42
	v_add_f32_e32 v54, v54, v56
	v_sub_f32_e32 v56, v109, v108
	v_pk_fma_f32 v[108:109], v[124:125], s[52:53], v[58:59]
	v_pk_mul_f32 v[124:125], v[122:123], s[20:21]
	v_mov_b32_e32 v59, v110
	v_add_f32_e32 v54, v56, v54
	v_sub_f32_e32 v56, v111, v110
	v_pk_fma_f32 v[110:111], v[126:127], s[54:55], v[58:59]
	v_sub_f32_e32 v104, v125, v124
	v_mov_b32_e32 v59, v124
	v_pk_add_f32 v[124:125], v[42:43], v[38:39]
	v_mov_b32_e32 v96, v58
	v_pk_add_f32 v[124:125], v[124:125], v[48:49]
	;; [unrolled: 2-line block ×3, first 2 shown]
	v_pk_fma_f32 v[122:123], v[122:123], s[20:21], v[58:59]
	v_pk_add_f32 v[124:125], v[124:125], v[44:45]
	v_mul_f32_e32 v59, 0x3f6eb680, v58
	v_pk_add_f32 v[124:125], v[124:125], v[46:47]
	v_mov_b32_e32 v58, v16
	v_pk_add_f32 v[124:125], v[124:125], v[40:41]
	v_mov_b32_e32 v53, v42
	;; [unrolled: 2-line block ×3, first 2 shown]
	v_mov_b32_e32 v125, v64
	v_pk_add_f32 v[58:59], v[124:125], v[58:59]
	v_mov_b32_e32 v100, v10
	v_pk_add_f32 v[52:53], v[58:59], v[52:53]
	v_add_f32_e32 v128, v54, v56
	v_pk_add_f32 v[52:53], v[52:53], v[98:99]
	v_mov_b32_e32 v102, v20
	v_pk_add_f32 v[52:53], v[100:101], v[52:53]
	v_add_f32_e32 v16, v104, v128
	v_pk_add_f32 v[52:53], v[102:103], v[52:53]
	v_mov_b32_e32 v104, v18
	v_pk_add_f32 v[52:53], v[104:105], v[52:53]
	v_mov_b32_e32 v108, v12
	;; [unrolled: 2-line block ×3, first 2 shown]
	v_mov_b32_e32 v112, v31
	v_mov_b32_e32 v113, v31
	;; [unrolled: 1-line block ×4, first 2 shown]
	v_pk_mul_f32 v[82:83], v[82:83], s[12:13] op_sel_hi:[0,1]
	s_movk_i32 s12, 0x44
	v_pk_add_f32 v[52:53], v[110:111], v[52:53]
	v_mov_b32_e32 v122, v6
	v_mov_b32_e32 v56, v57
	v_pk_mul_f32 v[112:113], v[112:113], s[40:41]
	v_mad_u32_u24 v128, v118, s12, 0
	v_pk_add_f32 v[52:53], v[122:123], v[52:53]
	v_mov_b32_e32 v54, v55
	v_mov_b32_e32 v124, v90
	;; [unrolled: 1-line block ×3, first 2 shown]
	v_pk_mul_f32 v[90:91], v[90:91], s[0:1] op_sel_hi:[0,1]
	v_pk_mul_f32 v[56:57], v[56:57], s[38:39]
	s_mov_b32 s1, 0x3e3c28d5
	s_mov_b32 s0, s39
	ds_write2_b32 v128, v52, v53 offset1:1
	v_pk_fma_f32 v[52:53], v[96:97], s[26:27], v[112:113]
	s_mov_b32 s18, s29
	v_pk_mul_f32 v[54:55], v[54:55], s[0:1]
	s_mov_b32 s0, 0x3f06c442
	v_pk_add_f32 v[52:53], v[42:43], v[52:53]
	v_pk_fma_f32 v[104:105], v[114:115], s[28:29], v[56:57]
	v_mov_b32_e32 v64, v65
	s_mov_b32 s30, s19
	s_mov_b32 s1, 0x3f2c7751
	v_pk_add_f32 v[52:53], v[52:53], v[104:105]
	v_pk_fma_f32 v[104:105], v[116:117], s[18:19], v[54:55]
	v_mov_b32_e32 v72, v73
	s_mov_b32 s35, s26
	v_pk_mul_f32 v[64:65], v[64:65], s[0:1]
	s_mov_b32 s23, 0xbeb8f4ab
	v_pk_add_f32 v[52:53], v[52:53], v[104:105]
	v_pk_fma_f32 v[104:105], v[120:121], s[30:31], v[92:93]
	v_mov_b32_e32 v70, v71
	v_pk_mul_f32 v[100:101], v[36:37], s[4:5] op_sel_hi:[0,1]
	s_mov_b32 s36, s31
	v_pk_mul_f32 v[72:73], v[72:73], s[22:23]
	s_mov_b32 s4, 0x3f65296c
	s_mov_b32 s5, s38
	v_pk_add_f32 v[52:53], v[52:53], v[104:105]
	v_pk_fma_f32 v[104:105], v[126:127], s[34:35], v[64:65]
	v_mov_b32_e32 v58, v88
	v_mov_b32_e32 v59, v88
	;; [unrolled: 1-line block ×4, first 2 shown]
	s_mov_b32 s0, s27
	s_mov_b32 s1, s28
	v_pk_mul_f32 v[70:71], v[70:71], s[4:5]
	v_pk_add_f32 v[52:53], v[52:53], v[104:105]
	v_pk_fma_f32 v[104:105], v[124:125], s[36:37], v[72:73]
	v_mov_b32_e32 v98, v36
	v_mov_b32_e32 v99, v36
	s_mov_b32 s4, s37
	s_mov_b32 s5, s34
	v_pk_mul_f32 v[102:103], v[102:103], s[42:43]
	v_pk_add_f32 v[52:53], v[104:105], v[52:53]
	v_pk_fma_f32 v[104:105], v[58:59], s[0:1], v[70:71]
	v_pk_mul_f32 v[88:89], v[88:89], s[14:15] op_sel_hi:[0,1]
	v_pk_add_f32 v[52:53], v[52:53], v[104:105]
	v_pk_fma_f32 v[104:105], v[98:99], s[4:5], v[102:103]
	s_nop 0
	v_pk_add_f32 v[52:53], v[104:105], v[52:53]
	ds_write2_b32 v128, v52, v53 offset0:2 offset1:3
	v_pk_add_f32 v[52:53], v[60:61], v[106:107]
	v_pk_add_f32 v[60:61], v[62:63], v[86:87]
	;; [unrolled: 1-line block ×3, first 2 shown]
	s_nop 0
	v_pk_add_f32 v[52:53], v[52:53], v[60:61]
	v_pk_add_f32 v[60:61], v[66:67], v[84:85]
	s_nop 0
	v_pk_add_f32 v[52:53], v[52:53], v[60:61]
	v_pk_add_f32 v[60:61], v[68:69], v[94:95]
	;; [unrolled: 3-line block ×6, first 2 shown]
	s_nop 0
	v_pk_add_f32 v[52:53], v[60:61], v[52:53]
	ds_write2_b32 v128, v53, v52 offset0:4 offset1:5
	ds_write2_b32 v128, v28, v29 offset0:7 offset1:8
	;; [unrolled: 1-line block ×5, first 2 shown]
	v_pk_fma_f32 v[52:53], v[96:97], s[26:27], v[112:113] neg_lo:[0,0,1] neg_hi:[0,0,1]
	s_nop 0
	v_pk_add_f32 v[42:43], v[42:43], v[52:53]
	v_pk_fma_f32 v[52:53], v[114:115], s[28:29], v[56:57] neg_lo:[0,0,1] neg_hi:[0,0,1]
	s_nop 0
	v_pk_add_f32 v[42:43], v[42:43], v[52:53]
	;; [unrolled: 3-line block ×8, first 2 shown]
	ds_write2_b32 v128, v43, v42 offset0:14 offset1:15
	ds_write_b32 v128, v16 offset:64
	v_mov_b32_e32 v6, v43
.LBB0_17:
	s_or_b64 exec, exec, s[24:25]
	v_lshl_add_u32 v110, v118, 2, 0
	v_add_u32_e32 v6, 0x680, v110
	s_waitcnt lgkmcnt(0)
	s_barrier
	ds_read2_b32 v[54:55], v6 offset0:26 offset1:247
	v_add_u32_e32 v6, 0xd80, v110
	ds_read2_b32 v[42:43], v110 offset1:221
	ds_read2_b32 v[52:53], v6 offset0:20 offset1:241
	ds_read_b32 v111, v110 offset:5304
	s_movk_i32 s0, 0x66
	v_cmp_gt_u32_e64 s[0:1], s0, v118
	s_and_saveexec_b64 s[4:5], s[0:1]
	s_cbranch_execz .LBB0_19
; %bb.18:
	v_add_u32_e32 v1, 0x880, v110
	ds_read2_b32 v[34:35], v1 offset0:17 offset1:238
	v_add_u32_e32 v1, 0xf80, v110
	v_add_u32_e32 v0, 0x180, v110
	ds_read2_b32 v[56:57], v1 offset0:11 offset1:232
	ds_read2_b32 v[28:29], v0 offset0:23 offset1:244
	ds_read_b32 v1, v110 offset:5780
	s_waitcnt lgkmcnt(3)
	v_mov_b32_e32 v26, v34
	s_waitcnt lgkmcnt(2)
	v_mov_b32_e32 v27, v56
	v_mov_b32_e32 v0, v57
.LBB0_19:
	s_or_b64 exec, exec, s[4:5]
	v_pk_add_f32 v[56:57], v[24:25], v[38:39]
	v_mov_b32_e32 v6, v41
	v_pk_add_f32 v[56:57], v[56:57], v[48:49]
	v_mov_b32_e32 v58, v49
	;; [unrolled: 2-line block ×5, first 2 shown]
	v_mov_b32_e32 v38, v57
	v_mov_b32_e32 v51, v12
	v_pk_add_f32 v[84:85], v[38:39], v[6:7]
	s_mov_b32 s34, 0xbe8c1d8e
	v_pk_add_f32 v[86:87], v[48:49], v[50:51] neg_lo:[0,1] neg_hi:[0,1]
	v_mov_b32_e32 v48, v45
	v_mov_b32_e32 v49, v47
	;; [unrolled: 1-line block ×7, first 2 shown]
	s_mov_b32 s35, 0xbf763a35
	s_mov_b32 s44, 0xbf4c4adb
	v_mov_b32_e32 v50, v19
	v_mov_b32_e32 v51, v21
	v_pk_add_f32 v[90:91], v[44:45], v[46:47] neg_lo:[0,1] neg_hi:[0,1]
	s_mov_b32 s36, 0x3ee437d1
	s_mov_b32 s39, 0xbe3c28d5
	v_pk_mul_f32 v[82:83], v[38:39], s[34:35]
	v_mov_b32_e32 v38, v41
	v_mov_b32_e32 v39, v23
	;; [unrolled: 1-line block ×4, first 2 shown]
	s_mov_b32 s40, 0x3dbcf732
	s_mov_b32 s42, 0x3f7ee86f
	;; [unrolled: 1-line block ×3, first 2 shown]
	v_mov_b32_e32 v60, v9
	v_mov_b32_e32 v61, v13
	v_pk_add_f32 v[78:79], v[48:49], v[50:51]
	s_mov_b32 s37, 0xbf7ba420
	v_pk_add_f32 v[76:77], v[38:39], v[44:45]
	v_mov_b32_e32 v41, v22
	v_mov_b32_e32 v38, v10
	;; [unrolled: 1-line block ×3, first 2 shown]
	s_mov_b32 s41, 0x3f6eb680
	s_mov_b32 s43, 0xbeb8f4ab
	;; [unrolled: 1-line block ×4, first 2 shown]
	v_pk_mul_f32 v[48:49], v[30:31], s[44:45] op_sel_hi:[0,1]
	s_mov_b32 s18, 0x3f763a35
	s_mov_b32 s19, s39
	v_pk_add_f32 v[70:71], v[58:59], v[60:61]
	v_pk_add_f32 v[74:75], v[40:41], v[38:39] neg_lo:[0,1] neg_hi:[0,1]
	v_pk_fma_f32 v[38:39], v[84:85], s[4:5], v[48:49] op_sel:[1,0,0]
	s_mov_b32 s12, s34
	s_mov_b32 s13, s37
	v_pk_mul_f32 v[50:51], v[86:87], s[18:19] op_sel_hi:[0,1]
	s_mov_b32 s20, s43
	s_mov_b32 s21, s18
	;; [unrolled: 1-line block ×5, first 2 shown]
	v_pk_add_f32 v[38:39], v[24:25], v[38:39] op_sel:[1,0]
	v_pk_fma_f32 v[40:41], v[70:71], s[12:13], v[50:51] op_sel_hi:[0,1,1]
	s_mov_b32 s14, s41
	s_mov_b32 s15, s34
	v_pk_mul_f32 v[56:57], v[86:87], s[20:21] op_sel:[1,0]
	s_mov_b32 s47, 0x3eb8f4ab
	v_pk_add_f32 v[38:39], v[38:39], v[40:41]
	v_pk_fma_f32 v[40:41], v[70:71], s[14:15], v[56:57] op_sel:[1,0,0]
	s_mov_b32 s18, s28
	s_mov_b32 s19, s41
	v_pk_mul_f32 v[60:61], v[90:91], s[46:47] op_sel_hi:[0,1]
	s_mov_b32 s22, s42
	s_mov_b32 s23, s38
	;; [unrolled: 1-line block ×3, first 2 shown]
	v_pk_add_f32 v[38:39], v[38:39], v[40:41]
	v_pk_fma_f32 v[40:41], v[78:79], s[18:19], v[60:61] op_sel_hi:[0,1,1]
	s_mov_b32 s20, s40
	s_mov_b32 s21, s36
	v_pk_mul_f32 v[58:59], v[90:91], s[22:23] op_sel:[1,0]
	s_mov_b32 s24, 0xbf2c7751
	s_mov_b32 s25, s46
	;; [unrolled: 1-line block ×4, first 2 shown]
	v_pk_add_f32 v[38:39], v[38:39], v[40:41]
	v_pk_fma_f32 v[40:41], v[78:79], s[20:21], v[58:59] op_sel:[1,0,0]
	s_mov_b32 s22, s29
	s_mov_b32 s23, s28
	v_pk_mul_f32 v[62:63], v[74:75], s[24:25] op_sel_hi:[0,1]
	s_mov_b32 s49, 0x3f4c4adb
	s_mov_b32 s48, s39
	v_pk_mul_f32 v[96:97], v[86:87], s[30:31]
	v_pk_add_f32 v[38:39], v[38:39], v[40:41]
	v_pk_fma_f32 v[40:41], v[76:77], s[22:23], v[62:63] op_sel_hi:[0,1,1]
	s_mov_b32 s24, s37
	s_mov_b32 s25, s4
	v_pk_mul_f32 v[66:67], v[74:75], s[48:49] op_sel:[1,0]
	s_mov_b32 s30, 0x3f65296c
	v_pk_mul_f32 v[94:95], v[90:91], s[38:39]
	v_pk_add_f32 v[38:39], v[40:41], v[38:39]
	v_pk_fma_f32 v[40:41], v[76:77], s[24:25], v[66:67] op_sel:[1,0,0]
	s_mov_b32 s26, s36
	s_mov_b32 s27, s29
	v_pk_mul_f32 v[64:65], v[32:33], s[30:31] op_sel_hi:[0,1]
	s_mov_b32 s38, s46
	v_pk_add_f32 v[38:39], v[38:39], v[40:41]
	v_pk_fma_f32 v[40:41], v[36:37], s[26:27], v[64:65] op_sel:[1,0,0]
	s_mov_b32 s50, s28
	s_mov_b32 s51, s37
	v_pk_mul_f32 v[68:69], v[30:31], s[38:39] op_sel_hi:[0,1]
	s_mov_b32 s52, s30
	s_mov_b32 s53, s47
	v_pk_add_f32 v[40:41], v[40:41], v[38:39]
	v_pk_mul_f32 v[38:39], v[84:85], s[50:51] op_sel:[1,0]
	v_pk_fma_f32 v[102:103], v[84:85], s[50:51], v[68:69] op_sel:[1,0,0] neg_lo:[0,0,1] neg_hi:[0,0,1]
	v_pk_fma_f32 v[98:99], v[84:85], s[50:51], v[68:69] op_sel:[1,0,0]
	s_mov_b32 s50, s36
	s_mov_b32 s51, s41
	v_pk_mul_f32 v[104:105], v[86:87], s[52:53] op_sel_hi:[0,1]
	v_pk_mul_f32 v[92:93], v[70:71], s[28:29]
	v_mov_b32_e32 v98, v102
	v_pk_mul_f32 v[100:101], v[70:71], s[50:51] op_sel_hi:[0,1]
	v_pk_fma_f32 v[106:107], v[70:71], s[50:51], v[104:105] op_sel_hi:[0,1,1] neg_lo:[0,0,1] neg_hi:[0,0,1]
	v_pk_fma_f32 v[108:109], v[70:71], s[50:51], v[104:105] op_sel_hi:[0,1,1]
	s_mov_b32 s52, s45
	s_mov_b32 s53, s46
	v_mov_b32_e32 v39, v38
	v_mov_b32_e32 v38, v82
	;; [unrolled: 1-line block ×4, first 2 shown]
	v_pk_add_f32 v[98:99], v[24:25], v[98:99] op_sel:[1,0]
	v_mov_b32_e32 v108, v106
	s_mov_b32 s50, s40
	s_mov_b32 s51, s28
	v_pk_mul_f32 v[112:113], v[86:87], s[52:53] op_sel:[1,0]
	v_pk_add_f32 v[38:39], v[38:39], v[68:69]
	v_mov_b32_e32 v69, v100
	v_mov_b32_e32 v68, v92
	;; [unrolled: 1-line block ×4, first 2 shown]
	v_pk_add_f32 v[98:99], v[98:99], v[108:109]
	v_pk_mul_f32 v[108:109], v[70:71], s[50:51] op_sel:[1,0]
	v_pk_fma_f32 v[114:115], v[70:71], s[50:51], v[112:113] op_sel:[1,0,0] neg_lo:[0,0,1] neg_hi:[0,0,1]
	v_pk_fma_f32 v[116:117], v[70:71], s[50:51], v[112:113] op_sel:[1,0,0]
	s_mov_b32 s46, s49
	s_mov_b32 s47, s31
	v_pk_add_f32 v[38:39], v[24:25], v[38:39] op_sel:[1,0]
	v_pk_add_f32 v[68:69], v[68:69], v[100:101]
	v_mov_b32_e32 v116, v114
	s_mov_b32 s28, s4
	v_pk_mul_f32 v[120:121], v[90:91], s[46:47] op_sel_hi:[0,1]
	v_pk_add_f32 v[38:39], v[38:39], v[68:69]
	v_mov_b32_e32 v68, v93
	v_mov_b32_e32 v69, v108
	;; [unrolled: 1-line block ×4, first 2 shown]
	v_pk_mul_f32 v[88:89], v[78:79], s[36:37]
	v_pk_add_f32 v[98:99], v[98:99], v[116:117]
	v_pk_mul_f32 v[116:117], v[78:79], s[28:29] op_sel_hi:[0,1]
	v_pk_fma_f32 v[122:123], v[78:79], s[28:29], v[120:121] op_sel_hi:[0,1,1] neg_lo:[0,0,1] neg_hi:[0,0,1]
	v_pk_fma_f32 v[124:125], v[78:79], s[28:29], v[120:121] op_sel_hi:[0,1,1]
	s_mov_b32 s48, s43
	s_mov_b32 s49, s44
	v_pk_add_f32 v[68:69], v[68:69], v[100:101]
	v_mov_b32_e32 v124, v122
	s_mov_b32 s46, s41
	s_mov_b32 s47, s4
	v_pk_mul_f32 v[126:127], v[90:91], s[48:49] op_sel:[1,0]
	v_pk_add_f32 v[38:39], v[38:39], v[68:69]
	v_mov_b32_e32 v68, v88
	v_mov_b32_e32 v69, v116
	;; [unrolled: 1-line block ×4, first 2 shown]
	v_pk_add_f32 v[98:99], v[98:99], v[124:125]
	v_pk_mul_f32 v[124:125], v[78:79], s[46:47] op_sel:[1,0]
	v_pk_fma_f32 v[128:129], v[78:79], s[46:47], v[126:127] op_sel:[1,0,0] neg_lo:[0,0,1] neg_hi:[0,0,1]
	v_pk_fma_f32 v[130:131], v[78:79], s[46:47], v[126:127] op_sel:[1,0,0]
	s_mov_b32 s44, s37
	s_mov_b32 s45, s36
	;; [unrolled: 1-line block ×4, first 2 shown]
	v_pk_add_f32 v[68:69], v[68:69], v[100:101]
	v_mov_b32_e32 v130, v128
	v_pk_mul_f32 v[132:133], v[74:75], s[36:37] op_sel_hi:[0,1]
	s_mov_b32 s30, s31
	s_mov_b32 s31, s35
	v_pk_add_f32 v[38:39], v[38:39], v[68:69]
	v_mov_b32_e32 v68, v89
	v_mov_b32_e32 v69, v124
	;; [unrolled: 1-line block ×4, first 2 shown]
	v_add_f32_e32 v6, v25, v103
	v_pk_mul_f32 v[72:73], v[76:77], s[40:41]
	v_pk_mul_f32 v[80:81], v[74:75], s[42:43]
	v_pk_add_f32 v[98:99], v[98:99], v[130:131]
	v_pk_mul_f32 v[130:131], v[76:77], s[44:45] op_sel_hi:[0,1]
	v_pk_fma_f32 v[134:135], v[76:77], s[44:45], v[132:133] op_sel_hi:[0,1,1] neg_lo:[0,0,1] neg_hi:[0,0,1]
	v_pk_fma_f32 v[136:137], v[76:77], s[44:45], v[132:133] op_sel_hi:[0,1,1]
	s_mov_b32 s28, s29
	s_mov_b32 s29, s34
	v_pk_mul_f32 v[138:139], v[74:75], s[30:31] op_sel:[1,0]
	v_pk_add_f32 v[68:69], v[68:69], v[100:101]
	v_add_f32_e32 v6, v6, v107
	v_mov_b32_e32 v136, v134
	v_pk_fma_f32 v[140:141], v[76:77], s[28:29], v[138:139] op_sel:[1,0,0] neg_lo:[0,0,1] neg_hi:[0,0,1]
	v_pk_fma_f32 v[142:143], v[76:77], s[28:29], v[138:139] op_sel:[1,0,0]
	s_mov_b32 s30, s35
	s_mov_b32 s31, s42
	v_pk_add_f32 v[38:39], v[38:39], v[68:69]
	v_mov_b32_e32 v68, v72
	v_mov_b32_e32 v69, v130
	;; [unrolled: 1-line block ×4, first 2 shown]
	v_add_f32_e32 v6, v6, v115
	v_pk_add_f32 v[98:99], v[136:137], v[98:99]
	v_pk_mul_f32 v[136:137], v[76:77], s[28:29] op_sel:[1,0]
	v_mov_b32_e32 v142, v140
	s_mov_b32 s28, s34
	s_mov_b32 s29, s40
	v_pk_mul_f32 v[146:147], v[32:33], s[30:31] op_sel_hi:[0,1]
	v_pk_add_f32 v[68:69], v[68:69], v[100:101]
	v_add_f32_e32 v6, v6, v123
	v_pk_add_f32 v[142:143], v[98:99], v[142:143]
	v_pk_mul_f32 v[144:145], v[36:37], s[28:29] op_sel:[1,0]
	v_pk_fma_f32 v[98:99], v[36:37], s[28:29], v[146:147] op_sel:[1,0,0] neg_lo:[0,0,1] neg_hi:[0,0,1]
	v_pk_fma_f32 v[148:149], v[36:37], s[28:29], v[146:147] op_sel:[1,0,0]
	v_pk_add_f32 v[38:39], v[68:69], v[38:39]
	v_mov_b32_e32 v68, v73
	v_mov_b32_e32 v69, v136
	;; [unrolled: 1-line block ×4, first 2 shown]
	v_add_f32_e32 v6, v6, v129
	v_mul_f32_e32 v44, 0xbf1a4643, v37
	v_mul_f32_e32 v46, 0xbf4c4adb, v32
	v_mov_b32_e32 v148, v98
	v_pk_add_f32 v[68:69], v[68:69], v[100:101]
	v_mov_b32_e32 v45, v144
	v_mov_b32_e32 v47, v146
	v_add_f32_e32 v6, v135, v6
	v_pk_add_f32 v[68:69], v[38:39], v[68:69]
	v_pk_add_f32 v[100:101], v[44:45], v[46:47]
	v_add_f32_e32 v34, v6, v141
	v_pk_add_f32 v[38:39], v[148:149], v[142:143]
	s_waitcnt lgkmcnt(0)
	s_barrier
	s_and_saveexec_b64 s[28:29], s[2:3]
	s_xor_b64 s[2:3], exec, s[28:29]
; %bb.20:
                                        ; implicit-def: $vgpr25
                                        ; implicit-def: $vgpr30_vgpr31
                                        ; implicit-def: $vgpr32_vgpr33
                                        ; implicit-def: $vgpr36_vgpr37
                                        ; implicit-def: $vgpr70_vgpr71
                                        ; implicit-def: $vgpr86_vgpr87
                                        ; implicit-def: $vgpr92_vgpr93
                                        ; implicit-def: $vgpr96_vgpr97
                                        ; implicit-def: $vgpr78_vgpr79
                                        ; implicit-def: $vgpr90_vgpr91
                                        ; implicit-def: $vgpr88_vgpr89
                                        ; implicit-def: $vgpr94_vgpr95
                                        ; implicit-def: $vgpr84_vgpr85
                                        ; implicit-def: $vgpr82_vgpr83
                                        ; implicit-def: $vgpr76_vgpr77
                                        ; implicit-def: $vgpr74_vgpr75
                                        ; implicit-def: $vgpr72_vgpr73
                                        ; implicit-def: $vgpr80_vgpr81
                                        ; implicit-def: $vgpr44
                                        ; implicit-def: $vgpr46
                                        ; implicit-def: $vgpr48_vgpr49
                                        ; implicit-def: $vgpr50_vgpr51
                                        ; implicit-def: $vgpr56_vgpr57
                                        ; implicit-def: $vgpr60_vgpr61
                                        ; implicit-def: $vgpr58_vgpr59
                                        ; implicit-def: $vgpr62_vgpr63
                                        ; implicit-def: $vgpr66_vgpr67
                                        ; implicit-def: $vgpr64_vgpr65
                                        ; implicit-def: $vgpr16_vgpr17
                                        ; implicit-def: $vgpr22_vgpr23
                                        ; implicit-def: $vgpr14_vgpr15
                                        ; implicit-def: $vgpr10_vgpr11
                                        ; implicit-def: $vgpr20_vgpr21
                                        ; implicit-def: $vgpr18_vgpr19
                                        ; implicit-def: $vgpr12_vgpr13
                                        ; implicit-def: $vgpr8_vgpr9
                                        ; implicit-def: $vgpr6_vgpr7
; %bb.21:
	s_or_saveexec_b64 s[2:3], s[2:3]
	v_pk_add_f32 v[68:69], v[100:101], v[68:69]
	v_add_f32_e32 v45, v99, v34
	s_xor_b64 exec, exec, s[2:3]
	s_cbranch_execz .LBB0_23
; %bb.22:
	v_mov_b32_e32 v124, v70
	v_mov_b32_e32 v125, v86
	s_mov_b32 s29, 0xbf2c7751
	s_mov_b32 s28, 0x3f3d2fb0
	v_mov_b32_e32 v112, v86
	v_mov_b32_e32 v113, v86
	v_pk_mul_f32 v[126:127], v[124:125], s[28:29]
	v_mov_b32_e32 v86, v71
	s_mov_b32 s31, 0xbf65296c
	s_mov_b32 s30, 0x3ee437d1
	v_mov_b32_e32 v33, v126
	v_add_f32_e32 v8, v126, v127
	v_pk_mul_f32 v[126:127], v[86:87], s[30:31]
	v_pk_add_f32 v[92:93], v[92:93], v[96:97] neg_lo:[0,1] neg_hi:[0,1]
	v_mov_b32_e32 v96, v78
	v_mov_b32_e32 v97, v90
	s_mov_b32 s37, 0xbf7ee86f
	s_mov_b32 s36, 0x3dbcf732
	v_mov_b32_e32 v116, v90
	v_mov_b32_e32 v117, v90
	v_pk_fma_f32 v[124:125], v[124:125], s[28:29], v[32:33] neg_lo:[1,0,0] neg_hi:[1,0,0]
	v_mov_b32_e32 v33, v126
	v_pk_mul_f32 v[128:129], v[96:97], s[36:37]
	v_mov_b32_e32 v90, v79
	s_mov_b32 s35, 0xbf763a35
	s_mov_b32 s34, 0xbe8c1d8e
	v_mov_b32_e32 v22, v23
	v_mov_b32_e32 v23, 0x3f6eb680
	v_mov_b32_e32 v114, v87
	v_mov_b32_e32 v115, v87
	v_pk_fma_f32 v[86:87], v[86:87], s[30:31], v[32:33] neg_lo:[1,0,0] neg_hi:[1,0,0]
	v_mov_b32_e32 v33, v128
	v_pk_mul_f32 v[130:131], v[90:91], s[34:35]
	v_pk_add_f32 v[88:89], v[88:89], v[94:95] neg_lo:[0,1] neg_hi:[0,1]
	v_mul_f32_e32 v95, 0xbeb8f4ab, v30
	v_mov_b32_e32 v94, v17
	v_pk_add_f32 v[16:17], v[84:85], v[22:23]
	v_pk_fma_f32 v[96:97], v[96:97], s[36:37], v[32:33] neg_lo:[1,0,0] neg_hi:[1,0,0]
	v_mov_b32_e32 v33, v130
	v_pk_add_f32 v[16:17], v[16:17], v[94:95]
	v_pk_fma_f32 v[94:95], v[84:85], v[22:23], v[94:95] neg_lo:[0,0,1] neg_hi:[0,0,1]
	v_pk_mul_f32 v[22:23], v[84:85], v[22:23]
	v_mov_b32_e32 v120, v91
	v_mov_b32_e32 v121, v91
	v_pk_fma_f32 v[90:91], v[90:91], s[34:35], v[32:33] neg_lo:[1,0,0] neg_hi:[1,0,0]
	v_fmac_f32_e32 v23, 0xbeb8f4ab, v30
	v_mov_b32_e32 v6, v83
	v_mov_b32_e32 v90, v19
	v_add_f32_e32 v23, v25, v23
	v_pk_add_f32 v[18:19], v[82:83], v[6:7] neg_lo:[0,1] neg_hi:[0,1]
	v_mov_b32_e32 v6, v25
	v_add_f32_e32 v12, v126, v127
	v_mov_b32_e32 v17, v95
	v_pk_add_f32 v[18:19], v[6:7], v[18:19]
	v_add_f32_e32 v8, v23, v8
	v_add_f32_e32 v34, v128, v129
	v_mov_b32_e32 v124, v15
	v_pk_add_f32 v[16:17], v[16:17], v[24:25]
	v_pk_add_f32 v[18:19], v[18:19], v[92:93]
	v_add_f32_e32 v12, v8, v12
	v_mov_b32_e32 v8, v93
	v_add_f32_e32 v22, v130, v131
	v_pk_add_f32 v[16:17], v[16:17], v[124:125]
	v_pk_mul_f32 v[124:125], v[70:71], s[12:13] op_sel_hi:[0,1]
	v_pk_add_f32 v[18:19], v[18:19], v[8:9]
	v_add_f32_e32 v8, v12, v34
	s_mov_b32 s12, 0xbf1a4643
	v_mov_b32_e32 v86, v11
	v_add_f32_e32 v34, v8, v22
	v_mov_b32_e32 v22, v76
	v_mov_b32_e32 v23, v74
	s_mov_b32 s13, 0xbf4c4adb
	v_mov_b32_e32 v100, v70
	v_mov_b32_e32 v101, v70
	;; [unrolled: 1-line block ×8, first 2 shown]
	v_pk_mul_f32 v[70:71], v[70:71], s[14:15] op_sel:[1,0]
	v_pk_add_f32 v[16:17], v[86:87], v[16:17]
	v_mov_b32_e32 v96, v21
	v_pk_mul_f32 v[24:25], v[22:23], s[12:13]
	v_mov_b32_e32 v74, v77
	s_mov_b32 s15, 0xbf06c442
	s_mov_b32 s14, 0xbf59a7d5
	v_pk_add_f32 v[16:17], v[96:97], v[16:17]
	v_pk_mul_f32 v[96:97], v[36:37], s[26:27] op_sel:[1,0]
	v_mov_b32_e32 v47, v24
	v_add_f32_e32 v36, v24, v25
	v_pk_mul_f32 v[24:25], v[74:75], s[14:15]
	v_pk_fma_f32 v[22:23], v[22:23], s[12:13], v[46:47] neg_lo:[1,0,0] neg_hi:[1,0,0]
	v_mov_b32_e32 v47, v24
	v_mov_b32_e32 v94, v75
	;; [unrolled: 1-line block ×3, first 2 shown]
	v_pk_add_f32 v[16:17], v[90:91], v[16:17]
	v_pk_fma_f32 v[74:75], v[74:75], s[14:15], v[46:47] neg_lo:[1,0,0] neg_hi:[1,0,0]
	v_mov_b32_e32 v22, v13
	v_pk_add_f32 v[18:19], v[18:19], v[88:89]
	v_mov_b32_e32 v8, v89
	v_pk_add_f32 v[12:13], v[22:23], v[16:17]
	;; [unrolled: 2-line block ×3, first 2 shown]
	v_pk_add_f32 v[8:9], v[74:75], v[12:13]
	v_pk_add_f32 v[12:13], v[72:73], v[80:81] neg_lo:[0,1] neg_hi:[0,1]
	v_add_f32_e32 v22, v36, v34
	v_pk_add_f32 v[16:17], v[12:13], v[18:19]
	v_pk_mul_f32 v[10:11], v[78:79], s[18:19] op_sel_hi:[0,1]
	v_add_f32_e32 v17, v24, v25
	v_add_f32_e32 v22, v22, v17
	v_mov_b32_e32 v17, v16
	s_mov_b32 s18, 0xbf7ba420
	v_pk_add_f32 v[12:13], v[16:17], v[12:13]
	v_mov_b32_e32 v16, v37
	v_mov_b32_e32 v17, v32
	s_mov_b32 s19, 0xbe3c28d5
	v_pk_mul_f32 v[18:19], v[16:17], s[18:19]
	v_mov_b32_e32 v31, v30
	v_mov_b32_e32 v23, v18
	v_pk_fma_f32 v[16:17], v[16:17], s[18:19], v[22:23] neg_lo:[1,0,0] neg_hi:[1,0,0]
	v_mov_b32_e32 v104, v78
	v_mov_b32_e32 v105, v78
	;; [unrolled: 1-line block ×4, first 2 shown]
	v_pk_mul_f32 v[78:79], v[78:79], s[20:21] op_sel:[1,0]
	v_mov_b32_e32 v16, v7
	s_mov_b32 s20, s29
	s_mov_b32 s21, s31
	v_mov_b32_e32 v98, v85
	v_mov_b32_e32 v99, v85
	v_pk_mul_f32 v[86:87], v[76:77], s[22:23] op_sel_hi:[0,1]
	v_pk_add_f32 v[8:9], v[16:17], v[8:9]
	v_pk_mul_f32 v[16:17], v[30:31], s[20:21]
	s_mov_b32 s22, s37
	s_mov_b32 s23, s13
	;; [unrolled: 1-line block ×3, first 2 shown]
	v_pk_mul_f32 v[20:21], v[76:77], s[24:25] op_sel:[1,0]
	v_add_f32_e32 v7, v18, v19
	s_mov_b32 s20, s36
	s_mov_b32 s21, s12
	v_pk_mul_f32 v[18:19], v[112:113], s[22:23]
	s_mov_b32 s25, 0x3e3c28d5
	s_mov_b32 s24, s13
	v_pk_fma_f32 v[88:89], v[98:99], s[28:29], v[16:17] neg_lo:[0,0,1] neg_hi:[0,0,1]
	v_add_f32_e32 v34, v7, v22
	v_pk_fma_f32 v[22:23], v[100:101], s[20:21], v[18:19] neg_lo:[0,0,1] neg_hi:[0,0,1]
	s_mov_b32 s22, s12
	s_mov_b32 s23, s18
	v_pk_mul_f32 v[24:25], v[114:115], s[24:25]
	s_mov_b32 s25, 0x3f763a35
	s_mov_b32 s24, s19
	;; [unrolled: 1-line block ×3, first 2 shown]
	v_pk_add_f32 v[88:89], v[132:133], v[88:89]
	v_mov_b32_e32 v14, v37
	v_mov_b32_e32 v15, v37
	v_pk_fma_f32 v[30:31], v[102:103], s[22:23], v[24:25] neg_lo:[0,0,1] neg_hi:[0,0,1]
	s_mov_b32 s12, s18
	s_mov_b32 s13, s34
	v_pk_mul_f32 v[36:37], v[116:117], s[24:25]
	s_mov_b32 s27, 0x3f2c7751
	v_pk_add_f32 v[22:23], v[88:89], v[22:23]
	v_pk_mul_f32 v[84:85], v[84:85], s[4:5] op_sel:[1,0]
	s_mov_b32 s5, 0xbeb8f4ab
	v_pk_fma_f32 v[72:73], v[104:105], s[12:13], v[36:37] neg_lo:[0,0,1] neg_hi:[0,0,1]
	s_mov_b32 s18, s14
	s_mov_b32 s19, s28
	v_pk_mul_f32 v[74:75], v[120:121], s[26:27]
	s_mov_b32 s4, s25
	v_pk_add_f32 v[22:23], v[22:23], v[30:31]
	v_mov_b32_e32 v108, v76
	v_mov_b32_e32 v109, v76
	;; [unrolled: 1-line block ×4, first 2 shown]
	s_mov_b32 s35, 0x3f6eb680
	v_pk_fma_f32 v[76:77], v[106:107], s[18:19], v[74:75] neg_lo:[0,0,1] neg_hi:[0,0,1]
	v_pk_mul_f32 v[80:81], v[122:123], s[4:5]
	v_pk_add_f32 v[22:23], v[22:23], v[72:73]
	s_mov_b32 s31, s36
	s_mov_b32 s36, 0x3f65296c
	v_pk_fma_f32 v[16:17], v[98:99], s[28:29], v[16:17]
	v_mov_b32_e32 v33, v32
	v_pk_fma_f32 v[82:83], v[108:109], s[34:35], v[80:81] neg_lo:[0,0,1] neg_hi:[0,0,1]
	v_pk_add_f32 v[22:23], v[22:23], v[76:77]
	v_pk_mul_f32 v[30:31], v[94:95], s[36:37]
	s_mov_b32 s5, s14
	s_mov_b32 s14, 0x3eb8f4ab
	v_pk_fma_f32 v[18:19], v[100:101], s[20:21], v[18:19]
	v_pk_add_f32 v[16:17], v[132:133], v[16:17]
	v_pk_add_f32 v[22:23], v[82:83], v[22:23]
	v_pk_fma_f32 v[72:73], v[126:127], s[30:31], v[30:31] neg_lo:[0,0,1] neg_hi:[0,0,1]
	s_mov_b32 s4, s35
	v_pk_mul_f32 v[32:33], v[32:33], s[14:15]
	v_pk_fma_f32 v[24:25], v[102:103], s[22:23], v[24:25]
	v_pk_add_f32 v[16:17], v[16:17], v[18:19]
	v_pk_add_f32 v[22:23], v[22:23], v[72:73]
	v_pk_fma_f32 v[72:73], v[14:15], s[4:5], v[32:33] neg_lo:[0,0,1] neg_hi:[0,0,1]
	v_pk_fma_f32 v[36:37], v[104:105], s[12:13], v[36:37]
	v_pk_add_f32 v[16:17], v[16:17], v[24:25]
	v_pk_add_f32 v[22:23], v[72:73], v[22:23]
	v_pk_fma_f32 v[72:73], v[106:107], s[18:19], v[74:75]
	v_pk_add_f32 v[16:17], v[16:17], v[36:37]
	v_pk_fma_f32 v[74:75], v[108:109], s[34:35], v[80:81]
	;; [unrolled: 2-line block ×4, first 2 shown]
	v_pk_add_f32 v[16:17], v[16:17], v[18:19]
	v_mov_b32_e32 v18, v85
	v_mov_b32_e32 v19, v125
	;; [unrolled: 1-line block ×4, first 2 shown]
	v_pk_add_f32 v[14:15], v[14:15], v[16:17]
	v_pk_add_f32 v[16:17], v[84:85], v[48:49] neg_lo:[0,1] neg_hi:[0,1]
	v_pk_add_f32 v[18:19], v[18:19], v[24:25] neg_lo:[0,1] neg_hi:[0,1]
	v_pk_add_f32 v[16:17], v[6:7], v[16:17]
	v_pk_add_f32 v[6:7], v[6:7], v[18:19]
	v_mov_b32_e32 v12, v19
	v_pk_add_f32 v[18:19], v[124:125], v[50:51] neg_lo:[0,1] neg_hi:[0,1]
	v_mov_b32_e32 v24, v57
	v_pk_add_f32 v[16:17], v[16:17], v[18:19]
	v_pk_add_f32 v[18:19], v[70:71], v[56:57] neg_lo:[0,1] neg_hi:[0,1]
	v_mov_b32_e32 v25, v61
	v_pk_add_f32 v[16:17], v[16:17], v[18:19]
	v_mov_b32_e32 v18, v71
	v_mov_b32_e32 v19, v11
	v_pk_add_f32 v[10:11], v[10:11], v[60:61] neg_lo:[0,1] neg_hi:[0,1]
	v_pk_add_f32 v[6:7], v[6:7], v[12:13]
	v_pk_add_f32 v[18:19], v[18:19], v[24:25] neg_lo:[0,1] neg_hi:[0,1]
	v_pk_add_f32 v[10:11], v[16:17], v[10:11]
	v_pk_add_f32 v[16:17], v[78:79], v[58:59] neg_lo:[0,1] neg_hi:[0,1]
	v_mov_b32_e32 v78, v87
	v_mov_b32_e32 v58, v63
	v_pk_add_f32 v[6:7], v[6:7], v[18:19]
	v_mov_b32_e32 v12, v19
	v_pk_add_f32 v[10:11], v[10:11], v[16:17]
	v_pk_add_f32 v[16:17], v[78:79], v[58:59] neg_lo:[0,1] neg_hi:[0,1]
	v_pk_add_f32 v[6:7], v[6:7], v[12:13]
	v_mov_b32_e32 v12, v17
	v_pk_add_f32 v[6:7], v[6:7], v[12:13]
	v_mov_b32_e32 v19, v44
	v_pk_add_f32 v[6:7], v[16:17], v[6:7]
	v_pk_add_f32 v[16:17], v[86:87], v[62:63] neg_lo:[0,1] neg_hi:[0,1]
	v_mov_b32_e32 v18, v6
	v_pk_add_f32 v[10:11], v[16:17], v[10:11]
	v_pk_add_f32 v[16:17], v[20:21], v[66:67] neg_lo:[0,1] neg_hi:[0,1]
	v_mov_b32_e32 v21, v46
	v_mov_b32_e32 v20, v17
	v_pk_add_f32 v[10:11], v[10:11], v[16:17]
	v_pk_add_f32 v[16:17], v[96:97], v[64:65] neg_lo:[0,1] neg_hi:[0,1]
	v_pk_add_f32 v[6:7], v[6:7], v[20:21]
	v_pk_add_f32 v[18:19], v[18:19], v[20:21] neg_lo:[0,1] neg_hi:[0,1]
	v_pk_add_f32 v[10:11], v[16:17], v[10:11]
	v_mov_b32_e32 v7, v19
	v_mov_b32_e32 v12, v17
	v_lshl_add_u32 v11, v118, 6, v110
	v_pk_add_f32 v[6:7], v[6:7], v[12:13]
	ds_write2_b32 v11, v8, v9 offset1:1
	ds_write2_b32 v11, v22, v23 offset0:2 offset1:3
	ds_write2_b32 v11, v6, v7 offset0:4 offset1:5
	;; [unrolled: 1-line block ×7, first 2 shown]
	ds_write_b32 v11, v34 offset:64
.LBB0_23:
	s_or_b64 exec, exec, s[2:3]
	v_add_u32_e32 v8, 0x680, v110
	s_waitcnt lgkmcnt(0)
	s_barrier
	ds_read2_b32 v[10:11], v8 offset0:26 offset1:247
	v_add_u32_e32 v8, 0xd80, v110
	ds_read2_b32 v[6:7], v110 offset1:221
	ds_read2_b32 v[8:9], v8 offset0:20 offset1:241
	ds_read_b32 v12, v110 offset:5304
	s_and_saveexec_b64 s[2:3], s[0:1]
	s_cbranch_execz .LBB0_25
; %bb.24:
	v_add_u32_e32 v13, 0x180, v110
	ds_read2_b32 v[44:45], v13 offset0:23 offset1:244
	v_add_u32_e32 v13, 0x880, v110
	ds_read2_b32 v[68:69], v13 offset0:17 offset1:238
	;; [unrolled: 2-line block ×3, first 2 shown]
	ds_read_b32 v41, v110 offset:5780
	s_waitcnt lgkmcnt(3)
	v_mov_b32_e32 v38, v44
	s_waitcnt lgkmcnt(2)
	v_mov_b32_e32 v39, v68
	;; [unrolled: 2-line block ×3, first 2 shown]
	v_mov_b32_e32 v68, v15
.LBB0_25:
	s_or_b64 exec, exec, s[2:3]
	s_movk_i32 s2, 0xf1
	v_mul_lo_u16_sdwa v13, v118, s2 dst_sel:DWORD dst_unused:UNUSED_PAD src0_sel:BYTE_0 src1_sel:DWORD
	v_add_u16_e32 v15, 0x77, v118
	v_lshrrev_b16_e32 v34, 12, v13
	v_mul_lo_u16_sdwa v16, v15, s2 dst_sel:DWORD dst_unused:UNUSED_PAD src0_sel:BYTE_0 src1_sel:DWORD
	v_mul_lo_u16_e32 v13, 17, v34
	v_lshrrev_b16_e32 v17, 12, v16
	v_sub_u16_e32 v36, v118, v13
	v_mov_b32_e32 v13, 6
	v_mul_lo_u16_e32 v16, 17, v17
	v_mul_u32_u24_sdwa v14, v36, v13 dst_sel:DWORD dst_unused:UNUSED_PAD src0_sel:BYTE_0 src1_sel:DWORD
	v_sub_u16_e32 v18, v15, v16
	v_lshlrev_b32_e32 v14, 3, v14
	v_mul_u32_u24_sdwa v13, v18, v13 dst_sel:DWORD dst_unused:UNUSED_PAD src0_sel:BYTE_0 src1_sel:DWORD
	global_load_dwordx4 v[46:49], v14, s[8:9]
	global_load_dwordx4 v[56:59], v14, s[8:9] offset:16
	global_load_dwordx4 v[60:63], v14, s[8:9] offset:32
	v_lshlrev_b32_e32 v13, 3, v13
	global_load_dwordx4 v[64:67], v13, s[8:9]
	global_load_dwordx4 v[70:73], v13, s[8:9] offset:16
	global_load_dwordx4 v[74:77], v13, s[8:9] offset:32
	s_mov_b32 s4, 0xbf5ff5aa
	s_mov_b32 s5, 0x3f3bfb3b
	;; [unrolled: 1-line block ×4, first 2 shown]
	v_mul_u32_u24_e32 v34, 0x1dc, v34
	s_waitcnt lgkmcnt(0)
	s_barrier
	s_waitcnt vmcnt(5)
	v_mul_f32_e32 v13, v7, v47
	v_mul_f32_e32 v14, v10, v49
	s_waitcnt vmcnt(3)
	v_mul_f32_e32 v32, v9, v61
	v_mul_f32_e32 v33, v12, v63
	;; [unrolled: 1-line block ×10, first 2 shown]
	s_waitcnt vmcnt(1)
	v_mul_f32_e32 v21, v69, v71
	s_waitcnt vmcnt(0)
	v_mul_f32_e32 v23, v68, v75
	v_fmac_f32_e32 v13, v43, v46
	v_fmac_f32_e32 v14, v54, v48
	;; [unrolled: 1-line block ×4, first 2 shown]
	v_mul_f32_e32 v20, v39, v67
	v_mul_f32_e32 v50, v26, v67
	;; [unrolled: 1-line block ×8, first 2 shown]
	v_fma_f32 v7, v7, v46, -v25
	v_fma_f32 v10, v10, v48, -v30
	v_fmac_f32_e32 v15, v55, v56
	v_fma_f32 v11, v11, v56, -v31
	v_fmac_f32_e32 v16, v52, v58
	v_fma_f32 v8, v8, v58, -v37
	v_fma_f32 v9, v9, v60, -v44
	;; [unrolled: 1-line block ×3, first 2 shown]
	v_fmac_f32_e32 v21, v35, v70
	v_fmac_f32_e32 v23, v0, v74
	v_add_f32_e32 v0, v13, v33
	v_add_f32_e32 v35, v14, v32
	v_mul_f32_e32 v49, v29, v65
	v_fmac_f32_e32 v20, v26, v66
	v_fma_f32 v26, v39, v66, -v50
	v_fmac_f32_e32 v22, v27, v72
	v_fma_f32 v27, v40, v72, -v57
	v_fmac_f32_e32 v24, v1, v76
	v_fma_f32 v31, v41, v76, -v61
	v_sub_f32_e32 v1, v7, v12
	v_sub_f32_e32 v37, v10, v9
	v_add_f32_e32 v39, v15, v16
	v_sub_f32_e32 v40, v8, v11
	v_add_f32_e32 v41, v35, v0
	v_mul_f32_e32 v19, v45, v65
	v_fma_f32 v25, v45, v64, -v49
	v_sub_f32_e32 v43, v35, v0
	v_sub_f32_e32 v0, v0, v39
	;; [unrolled: 1-line block ×3, first 2 shown]
	v_add_f32_e32 v44, v40, v37
	v_sub_f32_e32 v45, v40, v37
	v_sub_f32_e32 v37, v37, v1
	v_add_f32_e32 v39, v39, v41
	v_sub_f32_e32 v40, v1, v40
	v_add_f32_e32 v1, v44, v1
	v_mul_f32_e32 v0, 0x3f4a47b2, v0
	v_mul_f32_e32 v41, 0x3d64c772, v35
	v_mul_f32_e32 v44, 0x3f08b237, v45
	v_mul_f32_e32 v45, 0xbf5ff5aa, v37
	v_add_f32_e32 v42, v42, v39
	v_fma_f32 v41, v43, s5, -v41
	v_fmamk_f32 v39, v39, 0xbf955555, v42
	v_fma_f32 v43, v43, s12, -v0
	v_fmac_f32_e32 v0, 0x3d64c772, v35
	v_fma_f32 v35, v37, s4, -v44
	v_fmac_f32_e32 v44, 0xbeae86e6, v40
	v_fma_f32 v37, v40, s13, -v45
	v_add_f32_e32 v0, v0, v39
	v_add_f32_e32 v40, v41, v39
	;; [unrolled: 1-line block ×3, first 2 shown]
	v_fmac_f32_e32 v44, 0xbee1c552, v1
	v_fmac_f32_e32 v37, 0xbee1c552, v1
	;; [unrolled: 1-line block ×3, first 2 shown]
	v_add_f32_e32 v1, v44, v0
	v_add_f32_e32 v41, v37, v39
	v_sub_f32_e32 v37, v39, v37
	v_sub_f32_e32 v39, v0, v44
	v_mov_b32_e32 v0, 2
	v_lshlrev_b32_sdwa v36, v0, v36 dst_sel:DWORD dst_unused:UNUSED_PAD src0_sel:DWORD src1_sel:BYTE_0
	v_fmac_f32_e32 v19, v29, v64
	v_fma_f32 v29, v69, v70, -v51
	v_fma_f32 v30, v68, v74, -v59
	v_add3_u32 v34, 0, v34, v36
	v_sub_f32_e32 v43, v40, v35
	v_add_f32_e32 v35, v35, v40
	ds_write2_b32 v34, v42, v1 offset1:17
	ds_write2_b32 v34, v41, v43 offset0:34 offset1:51
	ds_write2_b32 v34, v35, v37 offset0:68 offset1:85
	ds_write_b32 v34, v39 offset:408
	s_and_saveexec_b64 s[2:3], s[0:1]
	s_cbranch_execz .LBB0_27
; %bb.26:
	v_add_f32_e32 v1, v19, v24
	v_add_f32_e32 v37, v20, v23
	;; [unrolled: 1-line block ×4, first 2 shown]
	v_sub_f32_e32 v42, v27, v29
	v_sub_f32_e32 v44, v26, v30
	;; [unrolled: 1-line block ×4, first 2 shown]
	v_add_f32_e32 v35, v35, v41
	v_sub_f32_e32 v41, v25, v31
	v_sub_f32_e32 v45, v42, v44
	v_mul_f32_e32 v36, 0x3f4a47b2, v36
	v_mul_f32_e32 v40, 0x3d64c772, v39
	v_add_f32_e32 v28, v28, v35
	v_sub_f32_e32 v43, v41, v42
	v_mul_f32_e32 v45, 0x3f08b237, v45
	v_add_f32_e32 v42, v42, v44
	v_sub_f32_e32 v1, v37, v1
	v_sub_f32_e32 v37, v44, v41
	v_fmamk_f32 v39, v39, 0x3d64c772, v36
	v_fmamk_f32 v35, v35, 0xbf955555, v28
	v_fmamk_f32 v46, v43, 0xbeae86e6, v45
	v_add_f32_e32 v42, v42, v41
	v_fma_f32 v36, v1, s12, -v36
	v_mul_f32_e32 v41, 0xbf5ff5aa, v37
	v_fma_f32 v37, v37, s4, -v45
	v_fma_f32 v1, v1, s5, -v40
	v_add_f32_e32 v39, v39, v35
	v_fmac_f32_e32 v46, 0xbee1c552, v42
	v_fmac_f32_e32 v37, 0xbee1c552, v42
	v_add_f32_e32 v1, v1, v35
	v_sub_f32_e32 v47, v39, v46
	v_add_f32_e32 v36, v36, v35
	v_fma_f32 v41, v43, s13, -v41
	v_add_f32_e32 v35, v37, v1
	v_sub_f32_e32 v1, v1, v37
	v_add_f32_e32 v37, v46, v39
	v_mul_u32_u24_e32 v39, 0x1dc, v17
	v_lshlrev_b32_sdwa v0, v0, v18 dst_sel:DWORD dst_unused:UNUSED_PAD src0_sel:DWORD src1_sel:BYTE_0
	v_fmac_f32_e32 v41, 0xbee1c552, v42
	v_add3_u32 v0, 0, v39, v0
	v_sub_f32_e32 v43, v36, v41
	v_add_f32_e32 v36, v41, v36
	ds_write2_b32 v0, v28, v37 offset1:17
	ds_write2_b32 v0, v36, v1 offset0:34 offset1:51
	ds_write2_b32 v0, v35, v43 offset0:68 offset1:85
	ds_write_b32 v0, v47 offset:408
.LBB0_27:
	s_or_b64 exec, exec, s[2:3]
	v_add_f32_e32 v0, v7, v12
	v_add_f32_e32 v7, v10, v9
	v_sub_f32_e32 v9, v14, v32
	v_add_f32_e32 v8, v11, v8
	v_sub_f32_e32 v10, v16, v15
	;; [unrolled: 2-line block ×3, first 2 shown]
	v_sub_f32_e32 v12, v7, v0
	v_sub_f32_e32 v0, v0, v8
	;; [unrolled: 1-line block ×4, first 2 shown]
	v_add_f32_e32 v8, v8, v11
	v_add_f32_e32 v13, v10, v9
	v_sub_f32_e32 v9, v9, v1
	v_add_f32_e32 v28, v6, v8
	v_mul_f32_e32 v0, 0x3f4a47b2, v0
	v_mul_f32_e32 v6, 0x3d64c772, v7
	v_mul_f32_e32 v11, 0x3f08b237, v14
	v_sub_f32_e32 v10, v1, v10
	v_add_f32_e32 v1, v13, v1
	v_fmamk_f32 v8, v8, 0xbf955555, v28
	v_fma_f32 v6, v12, s5, -v6
	v_fma_f32 v12, v12, s12, -v0
	v_fmac_f32_e32 v0, 0x3d64c772, v7
	v_fma_f32 v7, v9, s4, -v11
	v_mul_f32_e32 v13, 0xbf5ff5aa, v9
	v_add_f32_e32 v6, v6, v8
	v_fmac_f32_e32 v7, 0xbee1c552, v1
	v_fma_f32 v9, v10, s13, -v13
	v_add_f32_e32 v35, v7, v6
	v_sub_f32_e32 v36, v6, v7
	v_add_u32_e32 v6, 0x200, v110
	v_fmac_f32_e32 v11, 0xbeae86e6, v10
	v_add_f32_e32 v0, v0, v8
	v_add_f32_e32 v8, v12, v8
	v_fmac_f32_e32 v9, 0xbee1c552, v1
	s_waitcnt lgkmcnt(0)
	s_barrier
	ds_read2_b32 v[14:15], v6 offset0:110 offset1:229
	v_add_u32_e32 v6, 0x600, v110
	v_fmac_f32_e32 v11, 0xbee1c552, v1
	v_sub_f32_e32 v33, v8, v9
	v_add_f32_e32 v37, v9, v8
	ds_read2_b32 v[8:9], v6 offset0:92 offset1:211
	v_add_u32_e32 v6, 0xa00, v110
	v_add_u32_e32 v10, 0xe00, v110
	;; [unrolled: 1-line block ×3, first 2 shown]
	v_sub_f32_e32 v32, v0, v11
	v_add_f32_e32 v39, v11, v0
	ds_read2_b32 v[0:1], v110 offset1:119
	ds_read2_b32 v[6:7], v6 offset0:74 offset1:193
	ds_read2_b32 v[10:11], v10 offset0:56 offset1:175
	;; [unrolled: 1-line block ×3, first 2 shown]
	ds_read_b32 v16, v110 offset:5712
	s_waitcnt lgkmcnt(0)
	s_barrier
	ds_write2_b32 v34, v28, v32 offset1:17
	ds_write2_b32 v34, v33, v35 offset0:34 offset1:51
	ds_write2_b32 v34, v36, v37 offset0:68 offset1:85
	ds_write_b32 v34, v39 offset:408
	s_and_saveexec_b64 s[2:3], s[0:1]
	s_cbranch_execz .LBB0_29
; %bb.28:
	v_add_f32_e32 v25, v25, v31
	v_sub_f32_e32 v19, v19, v24
	v_add_f32_e32 v24, v26, v30
	v_sub_f32_e32 v20, v20, v23
	;; [unrolled: 2-line block ×4, first 2 shown]
	v_sub_f32_e32 v24, v23, v24
	v_add_f32_e32 v27, v21, v20
	v_sub_f32_e32 v28, v21, v20
	v_sub_f32_e32 v25, v25, v23
	;; [unrolled: 1-line block ×4, first 2 shown]
	v_add_f32_e32 v22, v23, v22
	v_add_f32_e32 v19, v27, v19
	v_mul_f32_e32 v27, 0x3d64c772, v24
	v_mul_f32_e32 v28, 0x3f08b237, v28
	s_mov_b32 s0, 0xbf5ff5aa
	s_mov_b32 s1, 0x3f3bfb3b
	v_add_f32_e32 v23, v38, v22
	v_mul_f32_e32 v25, 0x3f4a47b2, v25
	v_mul_f32_e32 v29, 0xbf5ff5aa, v20
	v_fma_f32 v27, v26, s1, -v27
	s_mov_b32 s1, 0xbf3bfb3b
	v_fma_f32 v20, v20, s0, -v28
	s_mov_b32 s0, 0x3eae86e6
	v_fmamk_f32 v22, v22, 0xbf955555, v23
	v_fma_f32 v26, v26, s1, -v25
	v_fmac_f32_e32 v25, 0x3d64c772, v24
	v_fmamk_f32 v24, v21, 0xbeae86e6, v28
	v_fma_f32 v21, v21, s0, -v29
	v_add_f32_e32 v25, v25, v22
	v_add_f32_e32 v27, v27, v22
	;; [unrolled: 1-line block ×3, first 2 shown]
	v_fmac_f32_e32 v24, 0xbee1c552, v19
	v_fmac_f32_e32 v21, 0xbee1c552, v19
	;; [unrolled: 1-line block ×3, first 2 shown]
	v_sub_f32_e32 v19, v25, v24
	v_sub_f32_e32 v26, v22, v21
	v_add_f32_e32 v21, v21, v22
	v_add_f32_e32 v22, v24, v25
	v_mov_b32_e32 v24, 2
	v_mul_u32_u24_e32 v17, 0x1dc, v17
	v_lshlrev_b32_sdwa v18, v24, v18 dst_sel:DWORD dst_unused:UNUSED_PAD src0_sel:DWORD src1_sel:BYTE_0
	v_add3_u32 v17, 0, v17, v18
	v_add_f32_e32 v28, v20, v27
	v_sub_f32_e32 v20, v27, v20
	ds_write2_b32 v17, v23, v19 offset1:17
	ds_write2_b32 v17, v26, v28 offset0:34 offset1:51
	ds_write2_b32 v17, v20, v21 offset0:68 offset1:85
	ds_write_b32 v17, v22 offset:408
.LBB0_29:
	s_or_b64 exec, exec, s[2:3]
	s_waitcnt lgkmcnt(0)
	s_barrier
	s_and_saveexec_b64 s[0:1], vcc
	s_cbranch_execz .LBB0_31
; %bb.30:
	v_mul_u32_u24_e32 v17, 12, v118
	v_lshlrev_b32_e32 v17, 3, v17
	global_load_dwordx4 v[18:21], v17, s[8:9] offset:816
	global_load_dwordx4 v[22:25], v17, s[8:9] offset:832
	;; [unrolled: 1-line block ×6, first 2 shown]
	v_add_u32_e32 v47, 0x200, v110
	v_add_u32_e32 v54, 0x600, v110
	;; [unrolled: 1-line block ×4, first 2 shown]
	v_mul_lo_u32 v17, s11, v4
	v_mul_lo_u32 v43, s10, v5
	v_mad_u64_u32 v[4:5], s[0:1], s10, v4, 0
	ds_read2_b32 v[56:57], v110 offset1:119
	ds_read_b32 v42, v110 offset:5712
	v_add_u32_e32 v49, 0x1200, v110
	v_mad_u64_u32 v[44:45], s[0:1], s16, v119, 0
	ds_read2_b32 v[50:51], v47 offset0:110 offset1:229
	ds_read2_b32 v[52:53], v49 offset0:38 offset1:157
	;; [unrolled: 1-line block ×5, first 2 shown]
	v_add3_u32 v5, v5, v43, v17
	v_mov_b32_e32 v62, v45
	v_mad_u64_u32 v[62:63], s[0:1], s17, v119, v[62:63]
	v_lshl_add_u64 v[4:5], v[4:5], 3, s[6:7]
	v_mov_b32_e32 v45, v62
	v_lshl_add_u64 v[62:63], v[2:3], 3, v[4:5]
	v_lshl_add_u64 v[2:3], v[44:45], 3, v[62:63]
	s_waitcnt lgkmcnt(1)
	v_mov_b32_e32 v44, v59
	v_mov_b32_e32 v46, v13
	;; [unrolled: 1-line block ×5, first 2 shown]
	s_mov_b32 s5, 0xbeedf032
	s_mov_b32 s4, 0x3f62ad3f
	;; [unrolled: 1-line block ×28, first 2 shown]
	s_waitcnt vmcnt(5)
	v_mul_f32_e32 v66, v1, v18
	v_mul_f32_e32 v1, v1, v19
	;; [unrolled: 1-line block ×4, first 2 shown]
	s_waitcnt vmcnt(4)
	v_mul_f32_e32 v70, v15, v22
	v_mul_f32_e32 v13, v15, v23
	s_waitcnt vmcnt(3)
	v_pk_mul_f32 v[14:15], v[42:43], v[28:29] op_sel_hi:[0,1]
	s_waitcnt vmcnt(2)
	v_pk_mul_f32 v[42:43], v[52:53], v[32:33] op_sel_hi:[0,1]
	v_pk_mul_f32 v[44:45], v[44:45], v[30:31] op_sel_hi:[0,1]
	v_mov_b32_e32 v52, v25
	v_mov_b32_e32 v53, v24
	v_pk_mul_f32 v[24:25], v[8:9], v[24:25] op_sel_hi:[0,1]
	s_waitcnt vmcnt(1)
	v_pk_mul_f32 v[58:59], v[58:59], v[36:37] op_sel_hi:[0,1]
	v_pk_mul_f32 v[4:5], v[4:5], v[26:27] op_sel_hi:[0,1]
	v_fmac_f32_e32 v66, v57, v19
	v_fma_f32 v18, v57, v18, -v1
	v_fmac_f32_e32 v68, v50, v21
	v_fma_f32 v69, v50, v20, -v11
	;; [unrolled: 2-line block ×3, first 2 shown]
	v_pk_fma_f32 v[50:51], v[48:49], v[30:31], v[44:45] op_sel:[0,0,1] op_sel_hi:[0,1,0]
	v_pk_fma_f32 v[72:73], v[48:49], v[30:31], v[44:45] op_sel:[0,0,1] op_sel_hi:[0,1,0] neg_lo:[1,0,0] neg_hi:[1,0,0]
	v_pk_fma_f32 v[48:49], v[54:55], v[52:53], v[24:25] op_sel_hi:[0,1,1]
	v_pk_fma_f32 v[24:25], v[54:55], v[52:53], v[24:25] op_sel_hi:[0,1,1] neg_lo:[0,0,1] neg_hi:[0,0,1]
	v_pk_fma_f32 v[52:53], v[10:11], v[36:37], v[58:59] op_sel:[0,0,1] op_sel_hi:[0,1,0]
	v_pk_fma_f32 v[54:55], v[10:11], v[36:37], v[58:59] op_sel:[0,0,1] op_sel_hi:[0,1,0] neg_lo:[1,0,0] neg_hi:[1,0,0]
	s_waitcnt vmcnt(0)
	v_pk_mul_f32 v[36:37], v[64:65], v[38:39] op_sel_hi:[0,1]
	v_mov_b32_e32 v8, v9
	v_pk_fma_f32 v[20:21], v[16:17], v[28:29], v[14:15] op_sel:[0,0,1] op_sel_hi:[0,1,0]
	v_pk_fma_f32 v[22:23], v[16:17], v[28:29], v[14:15] op_sel:[0,0,1] op_sel_hi:[0,1,0] neg_lo:[1,0,0] neg_hi:[1,0,0]
	v_pk_fma_f32 v[28:29], v[46:47], v[26:27], v[4:5] op_sel:[0,0,1] op_sel_hi:[0,1,0]
	v_pk_fma_f32 v[26:27], v[46:47], v[26:27], v[4:5] op_sel:[0,0,1] op_sel_hi:[0,1,0] neg_lo:[1,0,0] neg_hi:[1,0,0]
	v_add_f32_e32 v5, v18, v56
	v_add_f32_e32 v4, v0, v66
	v_pk_fma_f32 v[64:65], v[8:9], v[38:39], v[36:37] op_sel:[0,0,1] op_sel_hi:[0,1,0]
	v_pk_fma_f32 v[74:75], v[8:9], v[38:39], v[36:37] op_sel:[0,0,1] op_sel_hi:[0,1,0] neg_lo:[1,0,0] neg_hi:[1,0,0]
	s_waitcnt lgkmcnt(0)
	v_mov_b32_e32 v36, v61
	v_pk_mul_f32 v[36:37], v[36:37], v[34:35] op_sel_hi:[0,1]
	v_mov_b32_e32 v38, v7
	v_pk_add_f32 v[4:5], v[4:5], v[68:69]
	v_mov_b32_e32 v30, v48
	v_mov_b32_e32 v31, v25
	v_pk_fma_f32 v[76:77], v[38:39], v[34:35], v[36:37] op_sel:[0,0,1] op_sel_hi:[0,1,0]
	v_pk_fma_f32 v[78:79], v[38:39], v[34:35], v[36:37] op_sel:[0,0,1] op_sel_hi:[0,1,0] neg_lo:[1,0,0] neg_hi:[1,0,0]
	v_pk_mul_f32 v[36:37], v[60:61], v[40:41] op_sel_hi:[0,1]
	v_pk_add_f32 v[4:5], v[4:5], v[70:71]
	v_mov_b32_e32 v8, v64
	v_mov_b32_e32 v9, v75
	v_pk_fma_f32 v[80:81], v[6:7], v[40:41], v[36:37] op_sel:[0,0,1] op_sel_hi:[0,1,0]
	v_pk_fma_f32 v[82:83], v[6:7], v[40:41], v[36:37] op_sel:[0,0,1] op_sel_hi:[0,1,0] neg_lo:[1,0,0] neg_hi:[1,0,0]
	v_pk_add_f32 v[4:5], v[4:5], v[30:31]
	v_mov_b32_e32 v6, v80
	v_mov_b32_e32 v7, v83
	v_pk_add_f32 v[4:5], v[4:5], v[8:9]
	v_mov_b32_e32 v34, v76
	v_mov_b32_e32 v35, v79
	v_pk_add_f32 v[4:5], v[4:5], v[6:7]
	v_pk_fma_f32 v[46:47], v[12:13], v[32:33], v[42:43] op_sel:[0,0,1] op_sel_hi:[0,1,0]
	v_pk_fma_f32 v[42:43], v[12:13], v[32:33], v[42:43] op_sel:[0,0,1] op_sel_hi:[0,1,0] neg_lo:[1,0,0] neg_hi:[1,0,0]
	v_mov_b32_e32 v32, v52
	v_mov_b32_e32 v33, v55
	v_pk_add_f32 v[4:5], v[4:5], v[34:35]
	v_mov_b32_e32 v16, v50
	v_mov_b32_e32 v17, v73
	v_pk_add_f32 v[4:5], v[32:33], v[4:5]
	;; [unrolled: 3-line block ×5, first 2 shown]
	v_add_u32_e32 v1, 0x77, v119
	v_pk_add_f32 v[4:5], v[10:11], v[4:5]
	global_store_dwordx2 v[2:3], v[4:5], off
	v_mad_u64_u32 v[2:3], s[0:1], s16, v1, 0
	v_mov_b32_e32 v4, v3
	v_mad_u64_u32 v[4:5], s[0:1], s17, v1, v[4:5]
	v_mov_b32_e32 v3, v4
	v_add_u32_e32 v1, 0xee, v119
	v_lshl_add_u64 v[84:85], v[2:3], 3, v[62:63]
	v_mad_u64_u32 v[2:3], s[0:1], s16, v1, 0
	v_mov_b32_e32 v4, v3
	v_mad_u64_u32 v[4:5], s[0:1], s17, v1, v[4:5]
	v_mov_b32_e32 v3, v4
	v_add_u32_e32 v1, 0x165, v119
	v_lshl_add_u64 v[60:61], v[2:3], 3, v[62:63]
	;; [unrolled: 6-line block ×5, first 2 shown]
	v_mad_u64_u32 v[2:3], s[0:1], s16, v1, 0
	v_mov_b32_e32 v4, v3
	v_mad_u64_u32 v[4:5], s[0:1], s17, v1, v[4:5]
	v_add_u32_e32 v1, 0x341, v119
	v_mov_b32_e32 v3, v4
	v_mad_u64_u32 v[4:5], s[0:1], s16, v1, 0
	v_mov_b32_e32 v6, v5
	v_mad_u64_u32 v[6:7], s[0:1], s17, v1, v[6:7]
	v_add_u32_e32 v1, 0x3b8, v119
	v_mov_b32_e32 v5, v6
	;; [unrolled: 5-line block ×6, first 2 shown]
	v_mad_u64_u32 v[14:15], s[0:1], s16, v1, 0
	v_mov_b32_e32 v30, v15
	v_mad_u64_u32 v[30:31], s[0:1], s17, v1, v[30:31]
	v_mov_b32_e32 v15, v30
	v_pk_add_f32 v[30:31], v[66:67], v[20:21]
	v_pk_add_f32 v[20:21], v[66:67], v[20:21] neg_lo:[0,1] neg_hi:[0,1]
	v_pk_add_f32 v[34:35], v[68:69], v[28:29]
	v_mov_b32_e32 v31, v20
	v_pk_add_f32 v[20:21], v[68:69], v[28:29] neg_lo:[0,1] neg_hi:[0,1]
	v_pk_add_f32 v[36:37], v[18:19], v[22:23] op_sel:[0,1] neg_lo:[0,1] neg_hi:[0,1]
	v_pk_add_f32 v[18:19], v[18:19], v[22:23] op_sel_hi:[0,1]
	v_mov_b32_e32 v35, v20
	v_mov_b32_e32 v20, v69
	;; [unrolled: 1-line block ×3, first 2 shown]
	v_pk_add_f32 v[40:41], v[20:21], v[26:27] op_sel:[0,1] neg_lo:[0,1] neg_hi:[0,1]
	v_pk_add_f32 v[20:21], v[22:23], v[26:27] op_sel_hi:[0,1]
	v_pk_add_f32 v[38:39], v[70:71], v[46:47]
	v_pk_add_f32 v[22:23], v[70:71], v[46:47] neg_lo:[0,1] neg_hi:[0,1]
	v_mov_b32_e32 v26, v71
	v_mov_b32_e32 v39, v22
	;; [unrolled: 1-line block ×3, first 2 shown]
	v_pk_add_f32 v[44:45], v[22:23], v[42:43] op_sel:[0,1] neg_lo:[0,1] neg_hi:[0,1]
	v_pk_add_f32 v[22:23], v[26:27], v[42:43] op_sel_hi:[0,1]
	v_pk_add_f32 v[42:43], v[48:49], v[50:51]
	v_pk_add_f32 v[26:27], v[48:49], v[50:51] neg_lo:[0,1] neg_hi:[0,1]
	v_lshl_add_u64 v[2:3], v[2:3], 3, v[62:63]
	v_lshl_add_u64 v[4:5], v[4:5], 3, v[62:63]
	;; [unrolled: 1-line block ×7, first 2 shown]
	v_mov_b32_e32 v18, v36
	v_mov_b32_e32 v43, v26
	v_pk_add_f32 v[46:47], v[64:65], v[52:53]
	v_pk_add_f32 v[26:27], v[64:65], v[52:53] neg_lo:[0,1] neg_hi:[0,1]
	v_pk_mul_f32 v[62:63], v[30:31], s[4:5]
	s_mov_b32 s16, 0x3f116cb1
	v_mov_b32_e32 v47, v26
	v_pk_add_f32 v[52:53], v[74:75], v[54:55] neg_lo:[0,1] neg_hi:[0,1]
	v_pk_add_f32 v[26:27], v[74:75], v[54:55]
	v_pk_add_f32 v[50:51], v[80:81], v[76:77]
	v_pk_add_f32 v[28:29], v[80:81], v[76:77] neg_lo:[0,1] neg_hi:[0,1]
	s_mov_b32 s17, 0xbf52af12
	v_pk_fma_f32 v[74:75], v[36:37], s[18:19], v[62:63] neg_lo:[1,0,0] neg_hi:[1,0,0]
	v_pk_fma_f32 v[76:77], v[18:19], s[18:19], v[62:63]
	v_mov_b32_e32 v20, v40
	v_pk_mul_f32 v[64:65], v[34:35], s[16:17]
	s_mov_b32 s12, s17
	s_mov_b32 s13, s16
	v_mov_b32_e32 v75, v77
	v_mov_b32_e32 v1, v56
	;; [unrolled: 1-line block ×3, first 2 shown]
	v_pk_add_f32 v[54:55], v[82:83], v[78:79] neg_lo:[0,1] neg_hi:[0,1]
	v_pk_add_f32 v[28:29], v[82:83], v[78:79]
	v_pk_add_f32 v[56:57], v[0:1], v[74:75]
	v_pk_fma_f32 v[74:75], v[40:41], s[12:13], v[64:65] neg_lo:[1,0,0] neg_hi:[1,0,0]
	v_pk_fma_f32 v[78:79], v[20:21], s[12:13], v[64:65]
	v_mov_b32_e32 v22, v44
	v_pk_mul_f32 v[66:67], v[38:39], s[26:27]
	v_mov_b32_e32 v75, v79
	v_pk_add_f32 v[48:49], v[24:25], v[72:73] neg_lo:[0,1] neg_hi:[0,1]
	v_pk_add_f32 v[24:25], v[24:25], v[72:73]
	v_pk_add_f32 v[56:57], v[56:57], v[74:75]
	v_pk_fma_f32 v[74:75], v[44:45], s[20:21], v[66:67] neg_lo:[1,0,0] neg_hi:[1,0,0]
	v_pk_fma_f32 v[80:81], v[22:23], s[20:21], v[66:67]
	v_mov_b32_e32 v24, v49
	v_pk_mul_f32 v[68:69], v[42:43], s[6:7]
	s_mov_b32 s0, s7
	s_mov_b32 s1, s6
	v_mov_b32_e32 v75, v81
	v_pk_fma_f32 v[62:63], v[18:19], s[18:19], v[62:63] neg_lo:[0,0,1] neg_hi:[0,0,1]
	v_pk_add_f32 v[56:57], v[56:57], v[74:75]
	v_pk_fma_f32 v[74:75], v[48:49], s[0:1], v[68:69] op_sel:[1,0,0] neg_lo:[1,0,0] neg_hi:[1,0,0]
	v_pk_fma_f32 v[82:83], v[24:25], s[0:1], v[68:69]
	v_mov_b32_e32 v77, v63
	v_pk_fma_f32 v[64:65], v[20:21], s[12:13], v[64:65] neg_lo:[0,0,1] neg_hi:[0,0,1]
	v_mov_b32_e32 v26, v53
	v_pk_mul_f32 v[70:71], v[46:47], s[10:11]
	v_mov_b32_e32 v75, v83
	v_pk_add_f32 v[62:63], v[0:1], v[76:77]
	v_mov_b32_e32 v79, v65
	v_pk_fma_f32 v[64:65], v[22:23], s[20:21], v[66:67] neg_lo:[0,0,1] neg_hi:[0,0,1]
	v_pk_add_f32 v[56:57], v[56:57], v[74:75]
	v_pk_fma_f32 v[74:75], v[52:53], s[2:3], v[70:71] op_sel:[1,0,0] neg_lo:[1,0,0] neg_hi:[1,0,0]
	v_pk_fma_f32 v[86:87], v[26:27], s[2:3], v[70:71]
	v_pk_add_f32 v[62:63], v[62:63], v[78:79]
	v_mov_b32_e32 v81, v65
	v_pk_fma_f32 v[64:65], v[24:25], s[0:1], v[68:69] neg_lo:[0,0,1] neg_hi:[0,0,1]
	v_mov_b32_e32 v28, v55
	v_pk_mul_f32 v[72:73], v[50:51], s[14:15]
	v_mov_b32_e32 v75, v87
	v_pk_add_f32 v[62:63], v[62:63], v[80:81]
	v_mov_b32_e32 v83, v65
	v_pk_fma_f32 v[64:65], v[26:27], s[2:3], v[70:71] neg_lo:[0,0,1] neg_hi:[0,0,1]
	v_pk_add_f32 v[56:57], v[56:57], v[74:75]
	v_pk_fma_f32 v[74:75], v[54:55], s[8:9], v[72:73] op_sel:[1,0,0] neg_lo:[1,0,0] neg_hi:[1,0,0]
	v_pk_fma_f32 v[88:89], v[28:29], s[8:9], v[72:73]
	v_pk_add_f32 v[62:63], v[62:63], v[82:83]
	v_mov_b32_e32 v87, v65
	v_pk_fma_f32 v[64:65], v[28:29], s[8:9], v[72:73] neg_lo:[0,0,1] neg_hi:[0,0,1]
	v_mov_b32_e32 v75, v89
	v_pk_add_f32 v[62:63], v[62:63], v[86:87]
	v_mov_b32_e32 v89, v65
	v_pk_add_f32 v[62:63], v[62:63], v[88:89]
	v_pk_mul_f32 v[64:65], v[30:31], s[16:17]
	global_store_dwordx2 v[84:85], v[62:63], off
	v_pk_fma_f32 v[62:63], v[36:37], s[12:13], v[64:65] neg_lo:[1,0,0] neg_hi:[1,0,0]
	v_pk_fma_f32 v[66:67], v[18:19], s[12:13], v[64:65]
	v_pk_mul_f32 v[68:69], v[34:35], s[6:7]
	v_mov_b32_e32 v63, v67
	v_pk_fma_f32 v[70:71], v[40:41], s[0:1], v[68:69] neg_lo:[1,0,0] neg_hi:[1,0,0]
	v_pk_fma_f32 v[72:73], v[20:21], s[0:1], v[68:69]
	v_pk_add_f32 v[62:63], v[0:1], v[62:63]
	v_mov_b32_e32 v71, v73
	v_pk_add_f32 v[62:63], v[62:63], v[70:71]
	v_pk_mul_f32 v[70:71], v[38:39], s[14:15]
	v_pk_add_f32 v[56:57], v[56:57], v[74:75]
	v_pk_fma_f32 v[74:75], v[44:45], s[8:9], v[70:71] neg_lo:[1,0,0] neg_hi:[1,0,0]
	v_pk_fma_f32 v[76:77], v[22:23], s[8:9], v[70:71]
	v_pk_fma_f32 v[64:65], v[18:19], s[12:13], v[64:65] neg_lo:[0,0,1] neg_hi:[0,0,1]
	v_mov_b32_e32 v75, v77
	v_pk_add_f32 v[62:63], v[62:63], v[74:75]
	v_pk_mul_f32 v[74:75], v[42:43], s[30:31]
	v_mov_b32_e32 v67, v65
	v_pk_fma_f32 v[78:79], v[48:49], s[28:29], v[74:75] op_sel:[1,0,0] neg_lo:[1,0,0] neg_hi:[1,0,0]
	v_pk_fma_f32 v[80:81], v[24:25], s[28:29], v[74:75]
	s_mov_b32 s18, s23
	v_mov_b32_e32 v79, v81
	v_pk_add_f32 v[62:63], v[62:63], v[78:79]
	v_pk_mul_f32 v[78:79], v[46:47], s[22:23]
	s_mov_b32 s19, s26
	v_pk_add_f32 v[64:65], v[0:1], v[66:67]
	v_pk_fma_f32 v[66:67], v[20:21], s[0:1], v[68:69] neg_lo:[0,0,1] neg_hi:[0,0,1]
	v_pk_fma_f32 v[82:83], v[52:53], s[18:19], v[78:79] op_sel:[1,0,0] neg_lo:[1,0,0] neg_hi:[1,0,0]
	v_pk_fma_f32 v[84:85], v[26:27], s[18:19], v[78:79]
	v_mov_b32_e32 v73, v67
	v_pk_fma_f32 v[66:67], v[22:23], s[8:9], v[70:71] neg_lo:[0,0,1] neg_hi:[0,0,1]
	v_mov_b32_e32 v83, v85
	s_mov_b32 s5, 0x3eedf032
	v_pk_add_f32 v[64:65], v[64:65], v[72:73]
	v_mov_b32_e32 v77, v67
	v_pk_fma_f32 v[66:67], v[24:25], s[28:29], v[74:75] neg_lo:[0,0,1] neg_hi:[0,0,1]
	v_pk_add_f32 v[62:63], v[62:63], v[82:83]
	v_pk_mul_f32 v[82:83], v[50:51], s[4:5]
	s_mov_b32 s24, s5
	v_pk_add_f32 v[64:65], v[64:65], v[76:77]
	v_mov_b32_e32 v81, v67
	v_pk_fma_f32 v[66:67], v[26:27], s[18:19], v[78:79] neg_lo:[0,0,1] neg_hi:[0,0,1]
	v_pk_fma_f32 v[86:87], v[54:55], s[24:25], v[82:83] op_sel:[1,0,0] neg_lo:[1,0,0] neg_hi:[1,0,0]
	v_pk_fma_f32 v[88:89], v[28:29], s[24:25], v[82:83]
	v_pk_add_f32 v[64:65], v[64:65], v[80:81]
	v_mov_b32_e32 v85, v67
	v_pk_fma_f32 v[66:67], v[28:29], s[24:25], v[82:83] neg_lo:[0,0,1] neg_hi:[0,0,1]
	v_mov_b32_e32 v87, v89
	v_pk_add_f32 v[64:65], v[64:65], v[84:85]
	v_mov_b32_e32 v89, v67
	v_pk_add_f32 v[64:65], v[64:65], v[88:89]
	global_store_dwordx2 v[60:61], v[64:65], off
	v_pk_mul_f32 v[60:61], v[30:31], s[26:27]
	v_pk_mul_f32 v[64:65], v[34:35], s[14:15]
	v_pk_fma_f32 v[74:75], v[36:37], s[20:21], v[60:61] neg_lo:[1,0,0] neg_hi:[1,0,0]
	v_pk_fma_f32 v[76:77], v[18:19], s[20:21], v[60:61]
	v_pk_fma_f32 v[78:79], v[40:41], s[8:9], v[64:65] neg_lo:[1,0,0] neg_hi:[1,0,0]
	v_mov_b32_e32 v75, v77
	v_pk_fma_f32 v[80:81], v[20:21], s[8:9], v[64:65]
	v_pk_mul_f32 v[66:67], v[38:39], s[34:35]
	s_mov_b32 s34, s35
	s_mov_b32 s35, s6
	v_pk_add_f32 v[74:75], v[0:1], v[74:75]
	v_mov_b32_e32 v79, v81
	v_pk_add_f32 v[74:75], v[74:75], v[78:79]
	v_pk_fma_f32 v[78:79], v[44:45], s[34:35], v[66:67] neg_lo:[1,0,0] neg_hi:[1,0,0]
	v_pk_fma_f32 v[82:83], v[22:23], s[34:35], v[66:67]
	v_pk_mul_f32 v[68:69], v[42:43], s[4:5]
	v_mov_b32_e32 v79, v83
	v_pk_fma_f32 v[60:61], v[18:19], s[20:21], v[60:61] neg_lo:[0,0,1] neg_hi:[0,0,1]
	v_pk_add_f32 v[74:75], v[74:75], v[78:79]
	v_pk_fma_f32 v[78:79], v[48:49], s[24:25], v[68:69] op_sel:[1,0,0] neg_lo:[1,0,0] neg_hi:[1,0,0]
	v_pk_fma_f32 v[84:85], v[24:25], s[24:25], v[68:69]
	v_mov_b32_e32 v77, v61
	v_pk_fma_f32 v[64:65], v[20:21], s[8:9], v[64:65] neg_lo:[0,0,1] neg_hi:[0,0,1]
	v_pk_mul_f32 v[70:71], v[46:47], s[16:17]
	v_mov_b32_e32 v79, v85
	v_pk_add_f32 v[60:61], v[0:1], v[76:77]
	v_mov_b32_e32 v81, v65
	v_pk_fma_f32 v[64:65], v[22:23], s[34:35], v[66:67] neg_lo:[0,0,1] neg_hi:[0,0,1]
	v_pk_add_f32 v[62:63], v[62:63], v[86:87]
	v_pk_add_f32 v[74:75], v[74:75], v[78:79]
	v_pk_fma_f32 v[78:79], v[52:53], s[12:13], v[70:71] op_sel:[1,0,0] neg_lo:[1,0,0] neg_hi:[1,0,0]
	v_pk_fma_f32 v[86:87], v[26:27], s[12:13], v[70:71]
	v_pk_add_f32 v[60:61], v[60:61], v[80:81]
	v_mov_b32_e32 v83, v65
	v_pk_fma_f32 v[64:65], v[24:25], s[24:25], v[68:69] neg_lo:[0,0,1] neg_hi:[0,0,1]
	v_pk_mul_f32 v[72:73], v[50:51], s[10:11]
	v_mov_b32_e32 v79, v87
	v_pk_add_f32 v[60:61], v[60:61], v[82:83]
	v_mov_b32_e32 v85, v65
	v_pk_fma_f32 v[64:65], v[26:27], s[12:13], v[70:71] neg_lo:[0,0,1] neg_hi:[0,0,1]
	v_pk_add_f32 v[74:75], v[74:75], v[78:79]
	v_pk_fma_f32 v[78:79], v[54:55], s[2:3], v[72:73] op_sel:[1,0,0] neg_lo:[1,0,0] neg_hi:[1,0,0]
	v_pk_fma_f32 v[88:89], v[28:29], s[2:3], v[72:73]
	v_pk_add_f32 v[60:61], v[60:61], v[84:85]
	v_mov_b32_e32 v87, v65
	v_pk_fma_f32 v[64:65], v[28:29], s[2:3], v[72:73] neg_lo:[0,0,1] neg_hi:[0,0,1]
	v_mov_b32_e32 v79, v89
	v_pk_add_f32 v[60:61], v[60:61], v[86:87]
	v_mov_b32_e32 v89, v65
	v_pk_add_f32 v[60:61], v[60:61], v[88:89]
	global_store_dwordx2 v[58:59], v[60:61], off
	v_pk_mul_f32 v[58:59], v[30:31], s[6:7]
	v_pk_mul_f32 v[66:67], v[34:35], s[30:31]
	v_pk_fma_f32 v[60:61], v[36:37], s[0:1], v[58:59] neg_lo:[1,0,0] neg_hi:[1,0,0]
	v_pk_fma_f32 v[64:65], v[18:19], s[0:1], v[58:59]
	v_pk_fma_f32 v[68:69], v[40:41], s[28:29], v[66:67] neg_lo:[1,0,0] neg_hi:[1,0,0]
	v_mov_b32_e32 v61, v65
	v_pk_fma_f32 v[70:71], v[20:21], s[28:29], v[66:67]
	v_pk_add_f32 v[60:61], v[0:1], v[60:61]
	v_mov_b32_e32 v69, v71
	v_pk_add_f32 v[60:61], v[60:61], v[68:69]
	v_pk_mul_f32 v[68:69], v[38:39], s[4:5]
	v_pk_add_f32 v[74:75], v[74:75], v[78:79]
	v_pk_fma_f32 v[72:73], v[44:45], s[24:25], v[68:69] neg_lo:[1,0,0] neg_hi:[1,0,0]
	v_pk_fma_f32 v[76:77], v[22:23], s[24:25], v[68:69]
	v_pk_fma_f32 v[58:59], v[18:19], s[0:1], v[58:59] neg_lo:[0,0,1] neg_hi:[0,0,1]
	v_mov_b32_e32 v73, v77
	v_pk_add_f32 v[60:61], v[60:61], v[72:73]
	v_pk_mul_f32 v[72:73], v[42:43], s[26:27]
	s_mov_b32 s35, 0x3e750f2a
	v_pk_fma_f32 v[78:79], v[48:49], s[20:21], v[72:73] op_sel:[1,0,0] neg_lo:[1,0,0] neg_hi:[1,0,0]
	v_pk_fma_f32 v[80:81], v[24:25], s[20:21], v[72:73]
	s_mov_b32 s34, s14
	v_mov_b32_e32 v79, v81
	v_mov_b32_e32 v65, v59
	v_pk_add_f32 v[60:61], v[60:61], v[78:79]
	v_pk_mul_f32 v[78:79], v[46:47], s[34:35]
	s_mov_b32 s36, s35
	v_pk_add_f32 v[58:59], v[0:1], v[64:65]
	v_pk_fma_f32 v[64:65], v[20:21], s[28:29], v[66:67] neg_lo:[0,0,1] neg_hi:[0,0,1]
	v_pk_fma_f32 v[82:83], v[52:53], s[36:37], v[78:79] op_sel:[1,0,0] neg_lo:[1,0,0] neg_hi:[1,0,0]
	v_pk_fma_f32 v[84:85], v[26:27], s[36:37], v[78:79]
	v_mov_b32_e32 v71, v65
	v_pk_fma_f32 v[64:65], v[22:23], s[24:25], v[68:69] neg_lo:[0,0,1] neg_hi:[0,0,1]
	v_mov_b32_e32 v83, v85
	s_mov_b32 s31, 0x3f52af12
	s_mov_b32 s30, s16
	v_pk_add_f32 v[58:59], v[58:59], v[70:71]
	v_mov_b32_e32 v77, v65
	v_pk_fma_f32 v[64:65], v[24:25], s[20:21], v[72:73] neg_lo:[0,0,1] neg_hi:[0,0,1]
	v_pk_add_f32 v[60:61], v[60:61], v[82:83]
	v_pk_mul_f32 v[82:83], v[50:51], s[30:31]
	s_mov_b32 s26, s31
	s_mov_b32 s27, s16
	v_pk_add_f32 v[58:59], v[58:59], v[76:77]
	v_mov_b32_e32 v81, v65
	v_pk_fma_f32 v[64:65], v[26:27], s[36:37], v[78:79] neg_lo:[0,0,1] neg_hi:[0,0,1]
	v_pk_fma_f32 v[86:87], v[54:55], s[26:27], v[82:83] op_sel:[1,0,0] neg_lo:[1,0,0] neg_hi:[1,0,0]
	v_pk_fma_f32 v[88:89], v[28:29], s[26:27], v[82:83]
	v_pk_add_f32 v[58:59], v[58:59], v[80:81]
	v_mov_b32_e32 v85, v65
	v_pk_fma_f32 v[64:65], v[28:29], s[26:27], v[82:83] neg_lo:[0,0,1] neg_hi:[0,0,1]
	v_mov_b32_e32 v87, v89
	v_pk_add_f32 v[58:59], v[58:59], v[84:85]
	v_mov_b32_e32 v89, v65
	v_pk_add_f32 v[58:59], v[58:59], v[88:89]
	global_store_dwordx2 v[32:33], v[58:59], off
	v_pk_mul_f32 v[32:33], v[30:31], s[10:11]
	v_pk_mul_f32 v[66:67], v[34:35], s[22:23]
	v_pk_fma_f32 v[58:59], v[36:37], s[2:3], v[32:33] neg_lo:[1,0,0] neg_hi:[1,0,0]
	v_pk_fma_f32 v[64:65], v[18:19], s[2:3], v[32:33]
	v_pk_fma_f32 v[68:69], v[40:41], s[18:19], v[66:67] neg_lo:[1,0,0] neg_hi:[1,0,0]
	v_mov_b32_e32 v59, v65
	v_pk_fma_f32 v[70:71], v[20:21], s[18:19], v[66:67]
	v_pk_add_f32 v[58:59], v[0:1], v[58:59]
	v_mov_b32_e32 v69, v71
	v_pk_add_f32 v[58:59], v[58:59], v[68:69]
	v_pk_mul_f32 v[68:69], v[38:39], s[16:17]
	v_pk_fma_f32 v[32:33], v[18:19], s[2:3], v[32:33] neg_lo:[0,0,1] neg_hi:[0,0,1]
	v_pk_fma_f32 v[72:73], v[44:45], s[12:13], v[68:69] neg_lo:[1,0,0] neg_hi:[1,0,0]
	v_pk_fma_f32 v[76:77], v[22:23], s[12:13], v[68:69]
	v_mov_b32_e32 v65, v33
	v_mov_b32_e32 v73, v77
	v_pk_add_f32 v[58:59], v[58:59], v[72:73]
	v_pk_mul_f32 v[72:73], v[42:43], s[34:35]
	v_pk_add_f32 v[32:33], v[0:1], v[64:65]
	v_pk_fma_f32 v[78:79], v[48:49], s[36:37], v[72:73] op_sel:[1,0,0] neg_lo:[1,0,0] neg_hi:[1,0,0]
	v_pk_fma_f32 v[80:81], v[24:25], s[36:37], v[72:73]
	v_pk_fma_f32 v[64:65], v[20:21], s[18:19], v[66:67] neg_lo:[0,0,1] neg_hi:[0,0,1]
	v_mov_b32_e32 v79, v81
	v_pk_add_f32 v[58:59], v[58:59], v[78:79]
	v_pk_mul_f32 v[78:79], v[46:47], s[4:5]
	v_mov_b32_e32 v71, v65
	v_pk_fma_f32 v[82:83], v[52:53], s[24:25], v[78:79] op_sel:[1,0,0] neg_lo:[1,0,0] neg_hi:[1,0,0]
	v_pk_fma_f32 v[84:85], v[26:27], s[24:25], v[78:79]
	v_pk_fma_f32 v[64:65], v[22:23], s[12:13], v[68:69] neg_lo:[0,0,1] neg_hi:[0,0,1]
	v_mov_b32_e32 v83, v85
	v_pk_add_f32 v[32:33], v[32:33], v[70:71]
	v_mov_b32_e32 v77, v65
	v_pk_fma_f32 v[64:65], v[24:25], s[36:37], v[72:73] neg_lo:[0,0,1] neg_hi:[0,0,1]
	v_pk_add_f32 v[58:59], v[58:59], v[82:83]
	v_pk_mul_f32 v[82:83], v[50:51], s[6:7]
	v_pk_add_f32 v[32:33], v[32:33], v[76:77]
	v_mov_b32_e32 v81, v65
	v_pk_fma_f32 v[64:65], v[26:27], s[24:25], v[78:79] neg_lo:[0,0,1] neg_hi:[0,0,1]
	v_pk_add_f32 v[60:61], v[60:61], v[86:87]
	v_pk_fma_f32 v[86:87], v[54:55], s[0:1], v[82:83] op_sel:[1,0,0] neg_lo:[1,0,0] neg_hi:[1,0,0]
	v_pk_fma_f32 v[88:89], v[28:29], s[0:1], v[82:83]
	v_pk_add_f32 v[32:33], v[32:33], v[80:81]
	v_mov_b32_e32 v85, v65
	v_pk_fma_f32 v[64:65], v[28:29], s[0:1], v[82:83] neg_lo:[0,0,1] neg_hi:[0,0,1]
	v_mov_b32_e32 v87, v89
	v_pk_add_f32 v[32:33], v[32:33], v[84:85]
	v_mov_b32_e32 v89, v65
	v_pk_add_f32 v[32:33], v[32:33], v[88:89]
	global_store_dwordx2 v[16:17], v[32:33], off
	v_pk_mul_f32 v[16:17], v[30:31], s[14:15]
	v_pk_mul_f32 v[34:35], v[34:35], s[4:5]
	v_pk_fma_f32 v[30:31], v[36:37], s[8:9], v[16:17] neg_lo:[1,0,0] neg_hi:[1,0,0]
	v_pk_fma_f32 v[32:33], v[18:19], s[8:9], v[16:17]
	v_pk_fma_f32 v[36:37], v[40:41], s[24:25], v[34:35] neg_lo:[1,0,0] neg_hi:[1,0,0]
	v_mov_b32_e32 v31, v33
	v_pk_fma_f32 v[40:41], v[20:21], s[24:25], v[34:35]
	v_pk_add_f32 v[30:31], v[0:1], v[30:31]
	v_mov_b32_e32 v37, v41
	v_pk_add_f32 v[30:31], v[30:31], v[36:37]
	v_pk_mul_f32 v[36:37], v[38:39], s[10:11]
	v_pk_fma_f32 v[16:17], v[18:19], s[8:9], v[16:17] neg_lo:[0,0,1] neg_hi:[0,0,1]
	v_pk_fma_f32 v[38:39], v[44:45], s[2:3], v[36:37] neg_lo:[1,0,0] neg_hi:[1,0,0]
	v_pk_fma_f32 v[44:45], v[22:23], s[2:3], v[36:37]
	v_mov_b32_e32 v33, v17
	v_mov_b32_e32 v39, v45
	v_pk_add_f32 v[30:31], v[30:31], v[38:39]
	v_pk_mul_f32 v[38:39], v[42:43], s[30:31]
	v_pk_fma_f32 v[16:17], v[20:21], s[24:25], v[34:35] neg_lo:[0,0,1] neg_hi:[0,0,1]
	v_pk_fma_f32 v[42:43], v[48:49], s[26:27], v[38:39] op_sel:[1,0,0] neg_lo:[1,0,0] neg_hi:[1,0,0]
	v_pk_fma_f32 v[48:49], v[24:25], s[26:27], v[38:39]
	v_pk_add_f32 v[0:1], v[0:1], v[32:33]
	v_mov_b32_e32 v43, v49
	v_pk_add_f32 v[30:31], v[30:31], v[42:43]
	v_pk_mul_f32 v[42:43], v[46:47], s[6:7]
	v_mov_b32_e32 v41, v17
	v_pk_fma_f32 v[46:47], v[52:53], s[0:1], v[42:43] op_sel:[1,0,0] neg_lo:[1,0,0] neg_hi:[1,0,0]
	v_pk_fma_f32 v[52:53], v[26:27], s[0:1], v[42:43]
	v_pk_fma_f32 v[16:17], v[22:23], s[2:3], v[36:37] neg_lo:[0,0,1] neg_hi:[0,0,1]
	v_mov_b32_e32 v47, v53
	v_pk_add_f32 v[0:1], v[0:1], v[40:41]
	v_mov_b32_e32 v45, v17
	v_pk_fma_f32 v[16:17], v[24:25], s[26:27], v[38:39] neg_lo:[0,0,1] neg_hi:[0,0,1]
	v_pk_add_f32 v[30:31], v[30:31], v[46:47]
	v_pk_mul_f32 v[46:47], v[50:51], s[22:23]
	v_pk_add_f32 v[0:1], v[0:1], v[44:45]
	v_mov_b32_e32 v49, v17
	v_pk_fma_f32 v[16:17], v[26:27], s[0:1], v[42:43] neg_lo:[0,0,1] neg_hi:[0,0,1]
	v_pk_fma_f32 v[50:51], v[54:55], s[18:19], v[46:47] op_sel:[1,0,0] neg_lo:[1,0,0] neg_hi:[1,0,0]
	v_pk_fma_f32 v[54:55], v[28:29], s[18:19], v[46:47]
	v_pk_add_f32 v[0:1], v[0:1], v[48:49]
	v_mov_b32_e32 v53, v17
	v_pk_fma_f32 v[16:17], v[28:29], s[18:19], v[46:47] neg_lo:[0,0,1] neg_hi:[0,0,1]
	v_mov_b32_e32 v51, v55
	v_pk_add_f32 v[0:1], v[0:1], v[52:53]
	v_mov_b32_e32 v55, v17
	v_pk_add_f32 v[0:1], v[0:1], v[54:55]
	v_pk_add_f32 v[58:59], v[58:59], v[86:87]
	;; [unrolled: 1-line block ×3, first 2 shown]
	global_store_dwordx2 v[2:3], v[0:1], off
	global_store_dwordx2 v[4:5], v[30:31], off
	;; [unrolled: 1-line block ×7, first 2 shown]
.LBB0_31:
	s_endpgm
	.section	.rodata,"a",@progbits
	.p2align	6, 0x0
	.amdhsa_kernel fft_rtc_back_len1547_factors_17_7_13_wgs_119_tpt_119_halfLds_sp_op_CI_CI_sbrr_dirReg
		.amdhsa_group_segment_fixed_size 0
		.amdhsa_private_segment_fixed_size 0
		.amdhsa_kernarg_size 104
		.amdhsa_user_sgpr_count 2
		.amdhsa_user_sgpr_dispatch_ptr 0
		.amdhsa_user_sgpr_queue_ptr 0
		.amdhsa_user_sgpr_kernarg_segment_ptr 1
		.amdhsa_user_sgpr_dispatch_id 0
		.amdhsa_user_sgpr_kernarg_preload_length 0
		.amdhsa_user_sgpr_kernarg_preload_offset 0
		.amdhsa_user_sgpr_private_segment_size 0
		.amdhsa_uses_dynamic_stack 0
		.amdhsa_enable_private_segment 0
		.amdhsa_system_sgpr_workgroup_id_x 1
		.amdhsa_system_sgpr_workgroup_id_y 0
		.amdhsa_system_sgpr_workgroup_id_z 0
		.amdhsa_system_sgpr_workgroup_info 0
		.amdhsa_system_vgpr_workitem_id 0
		.amdhsa_next_free_vgpr 150
		.amdhsa_next_free_sgpr 56
		.amdhsa_accum_offset 152
		.amdhsa_reserve_vcc 1
		.amdhsa_float_round_mode_32 0
		.amdhsa_float_round_mode_16_64 0
		.amdhsa_float_denorm_mode_32 3
		.amdhsa_float_denorm_mode_16_64 3
		.amdhsa_dx10_clamp 1
		.amdhsa_ieee_mode 1
		.amdhsa_fp16_overflow 0
		.amdhsa_tg_split 0
		.amdhsa_exception_fp_ieee_invalid_op 0
		.amdhsa_exception_fp_denorm_src 0
		.amdhsa_exception_fp_ieee_div_zero 0
		.amdhsa_exception_fp_ieee_overflow 0
		.amdhsa_exception_fp_ieee_underflow 0
		.amdhsa_exception_fp_ieee_inexact 0
		.amdhsa_exception_int_div_zero 0
	.end_amdhsa_kernel
	.text
.Lfunc_end0:
	.size	fft_rtc_back_len1547_factors_17_7_13_wgs_119_tpt_119_halfLds_sp_op_CI_CI_sbrr_dirReg, .Lfunc_end0-fft_rtc_back_len1547_factors_17_7_13_wgs_119_tpt_119_halfLds_sp_op_CI_CI_sbrr_dirReg
                                        ; -- End function
	.section	.AMDGPU.csdata,"",@progbits
; Kernel info:
; codeLenInByte = 14160
; NumSgprs: 62
; NumVgprs: 150
; NumAgprs: 0
; TotalNumVgprs: 150
; ScratchSize: 0
; MemoryBound: 0
; FloatMode: 240
; IeeeMode: 1
; LDSByteSize: 0 bytes/workgroup (compile time only)
; SGPRBlocks: 7
; VGPRBlocks: 18
; NumSGPRsForWavesPerEU: 62
; NumVGPRsForWavesPerEU: 150
; AccumOffset: 152
; Occupancy: 3
; WaveLimiterHint : 1
; COMPUTE_PGM_RSRC2:SCRATCH_EN: 0
; COMPUTE_PGM_RSRC2:USER_SGPR: 2
; COMPUTE_PGM_RSRC2:TRAP_HANDLER: 0
; COMPUTE_PGM_RSRC2:TGID_X_EN: 1
; COMPUTE_PGM_RSRC2:TGID_Y_EN: 0
; COMPUTE_PGM_RSRC2:TGID_Z_EN: 0
; COMPUTE_PGM_RSRC2:TIDIG_COMP_CNT: 0
; COMPUTE_PGM_RSRC3_GFX90A:ACCUM_OFFSET: 37
; COMPUTE_PGM_RSRC3_GFX90A:TG_SPLIT: 0
	.text
	.p2alignl 6, 3212836864
	.fill 256, 4, 3212836864
	.type	__hip_cuid_3348a1396305e8e5,@object ; @__hip_cuid_3348a1396305e8e5
	.section	.bss,"aw",@nobits
	.globl	__hip_cuid_3348a1396305e8e5
__hip_cuid_3348a1396305e8e5:
	.byte	0                               ; 0x0
	.size	__hip_cuid_3348a1396305e8e5, 1

	.ident	"AMD clang version 19.0.0git (https://github.com/RadeonOpenCompute/llvm-project roc-6.4.0 25133 c7fe45cf4b819c5991fe208aaa96edf142730f1d)"
	.section	".note.GNU-stack","",@progbits
	.addrsig
	.addrsig_sym __hip_cuid_3348a1396305e8e5
	.amdgpu_metadata
---
amdhsa.kernels:
  - .agpr_count:     0
    .args:
      - .actual_access:  read_only
        .address_space:  global
        .offset:         0
        .size:           8
        .value_kind:     global_buffer
      - .offset:         8
        .size:           8
        .value_kind:     by_value
      - .actual_access:  read_only
        .address_space:  global
        .offset:         16
        .size:           8
        .value_kind:     global_buffer
      - .actual_access:  read_only
        .address_space:  global
        .offset:         24
        .size:           8
        .value_kind:     global_buffer
      - .actual_access:  read_only
        .address_space:  global
        .offset:         32
        .size:           8
        .value_kind:     global_buffer
      - .offset:         40
        .size:           8
        .value_kind:     by_value
      - .actual_access:  read_only
        .address_space:  global
        .offset:         48
        .size:           8
        .value_kind:     global_buffer
      - .actual_access:  read_only
        .address_space:  global
        .offset:         56
        .size:           8
        .value_kind:     global_buffer
      - .offset:         64
        .size:           4
        .value_kind:     by_value
      - .actual_access:  read_only
        .address_space:  global
        .offset:         72
        .size:           8
        .value_kind:     global_buffer
      - .actual_access:  read_only
        .address_space:  global
        .offset:         80
        .size:           8
        .value_kind:     global_buffer
      - .actual_access:  read_only
        .address_space:  global
        .offset:         88
        .size:           8
        .value_kind:     global_buffer
      - .actual_access:  write_only
        .address_space:  global
        .offset:         96
        .size:           8
        .value_kind:     global_buffer
    .group_segment_fixed_size: 0
    .kernarg_segment_align: 8
    .kernarg_segment_size: 104
    .language:       OpenCL C
    .language_version:
      - 2
      - 0
    .max_flat_workgroup_size: 119
    .name:           fft_rtc_back_len1547_factors_17_7_13_wgs_119_tpt_119_halfLds_sp_op_CI_CI_sbrr_dirReg
    .private_segment_fixed_size: 0
    .sgpr_count:     62
    .sgpr_spill_count: 0
    .symbol:         fft_rtc_back_len1547_factors_17_7_13_wgs_119_tpt_119_halfLds_sp_op_CI_CI_sbrr_dirReg.kd
    .uniform_work_group_size: 1
    .uses_dynamic_stack: false
    .vgpr_count:     150
    .vgpr_spill_count: 0
    .wavefront_size: 64
amdhsa.target:   amdgcn-amd-amdhsa--gfx950
amdhsa.version:
  - 1
  - 2
...

	.end_amdgpu_metadata
